;; amdgpu-corpus repo=ROCm/rocFFT kind=compiled arch=gfx1030 opt=O3
	.text
	.amdgcn_target "amdgcn-amd-amdhsa--gfx1030"
	.amdhsa_code_object_version 6
	.protected	fft_rtc_fwd_len748_factors_17_4_11_wgs_204_tpt_68_halfLds_half_op_CI_CI_unitstride_sbrr_R2C_dirReg ; -- Begin function fft_rtc_fwd_len748_factors_17_4_11_wgs_204_tpt_68_halfLds_half_op_CI_CI_unitstride_sbrr_R2C_dirReg
	.globl	fft_rtc_fwd_len748_factors_17_4_11_wgs_204_tpt_68_halfLds_half_op_CI_CI_unitstride_sbrr_R2C_dirReg
	.p2align	8
	.type	fft_rtc_fwd_len748_factors_17_4_11_wgs_204_tpt_68_halfLds_half_op_CI_CI_unitstride_sbrr_R2C_dirReg,@function
fft_rtc_fwd_len748_factors_17_4_11_wgs_204_tpt_68_halfLds_half_op_CI_CI_unitstride_sbrr_R2C_dirReg: ; @fft_rtc_fwd_len748_factors_17_4_11_wgs_204_tpt_68_halfLds_half_op_CI_CI_unitstride_sbrr_R2C_dirReg
; %bb.0:
	s_load_dwordx4 s[12:15], s[4:5], 0x0
	v_mul_u32_u24_e32 v1, 0x3c4, v0
	s_clause 0x1
	s_load_dwordx4 s[8:11], s[4:5], 0x58
	s_load_dwordx4 s[16:19], s[4:5], 0x18
	v_mov_b32_e32 v9, 0
	v_mov_b32_e32 v7, 0
	;; [unrolled: 1-line block ×3, first 2 shown]
	v_lshrrev_b32_e32 v1, 16, v1
	v_mad_u64_u32 v[3:4], null, s6, 3, v[1:2]
	v_mov_b32_e32 v4, v9
	v_mov_b32_e32 v1, v7
	;; [unrolled: 1-line block ×5, first 2 shown]
	s_waitcnt lgkmcnt(0)
	v_cmp_lt_u64_e64 s0, s[14:15], 2
	s_and_b32 vcc_lo, exec_lo, s0
	s_cbranch_vccnz .LBB0_8
; %bb.1:
	s_load_dwordx2 s[0:1], s[4:5], 0x10
	v_mov_b32_e32 v7, 0
	v_mov_b32_e32 v8, 0
	s_add_u32 s2, s18, 8
	v_mov_b32_e32 v12, v4
	s_addc_u32 s3, s19, 0
	v_mov_b32_e32 v1, v7
	v_mov_b32_e32 v11, v3
	s_add_u32 s6, s16, 8
	v_mov_b32_e32 v2, v8
	s_addc_u32 s7, s17, 0
	s_mov_b64 s[22:23], 1
	s_waitcnt lgkmcnt(0)
	s_add_u32 s20, s0, 8
	s_addc_u32 s21, s1, 0
.LBB0_2:                                ; =>This Inner Loop Header: Depth=1
	s_load_dwordx2 s[24:25], s[20:21], 0x0
                                        ; implicit-def: $vgpr5_vgpr6
	s_mov_b32 s0, exec_lo
	s_waitcnt lgkmcnt(0)
	v_or_b32_e32 v10, s25, v12
	v_cmpx_ne_u64_e32 0, v[9:10]
	s_xor_b32 s1, exec_lo, s0
	s_cbranch_execz .LBB0_4
; %bb.3:                                ;   in Loop: Header=BB0_2 Depth=1
	v_cvt_f32_u32_e32 v4, s24
	v_cvt_f32_u32_e32 v5, s25
	s_sub_u32 s0, 0, s24
	s_subb_u32 s26, 0, s25
	v_fmac_f32_e32 v4, 0x4f800000, v5
	v_rcp_f32_e32 v4, v4
	v_mul_f32_e32 v4, 0x5f7ffffc, v4
	v_mul_f32_e32 v5, 0x2f800000, v4
	v_trunc_f32_e32 v5, v5
	v_fmac_f32_e32 v4, 0xcf800000, v5
	v_cvt_u32_f32_e32 v5, v5
	v_cvt_u32_f32_e32 v4, v4
	v_mul_lo_u32 v6, s0, v5
	v_mul_hi_u32 v10, s0, v4
	v_mul_lo_u32 v13, s26, v4
	v_add_nc_u32_e32 v6, v10, v6
	v_mul_lo_u32 v10, s0, v4
	v_add_nc_u32_e32 v6, v6, v13
	v_mul_hi_u32 v13, v4, v10
	v_mul_lo_u32 v14, v4, v6
	v_mul_hi_u32 v15, v4, v6
	v_mul_hi_u32 v16, v5, v10
	v_mul_lo_u32 v10, v5, v10
	v_mul_hi_u32 v17, v5, v6
	v_mul_lo_u32 v6, v5, v6
	v_add_co_u32 v13, vcc_lo, v13, v14
	v_add_co_ci_u32_e32 v14, vcc_lo, 0, v15, vcc_lo
	v_add_co_u32 v10, vcc_lo, v13, v10
	v_add_co_ci_u32_e32 v10, vcc_lo, v14, v16, vcc_lo
	v_add_co_ci_u32_e32 v13, vcc_lo, 0, v17, vcc_lo
	v_add_co_u32 v6, vcc_lo, v10, v6
	v_add_co_ci_u32_e32 v10, vcc_lo, 0, v13, vcc_lo
	v_add_co_u32 v4, vcc_lo, v4, v6
	v_add_co_ci_u32_e32 v5, vcc_lo, v5, v10, vcc_lo
	v_mul_hi_u32 v6, s0, v4
	v_mul_lo_u32 v13, s26, v4
	v_mul_lo_u32 v10, s0, v5
	v_add_nc_u32_e32 v6, v6, v10
	v_mul_lo_u32 v10, s0, v4
	v_add_nc_u32_e32 v6, v6, v13
	v_mul_hi_u32 v13, v4, v10
	v_mul_lo_u32 v14, v4, v6
	v_mul_hi_u32 v15, v4, v6
	v_mul_hi_u32 v16, v5, v10
	v_mul_lo_u32 v10, v5, v10
	v_mul_hi_u32 v17, v5, v6
	v_mul_lo_u32 v6, v5, v6
	v_add_co_u32 v13, vcc_lo, v13, v14
	v_add_co_ci_u32_e32 v14, vcc_lo, 0, v15, vcc_lo
	v_add_co_u32 v10, vcc_lo, v13, v10
	v_add_co_ci_u32_e32 v10, vcc_lo, v14, v16, vcc_lo
	v_add_co_ci_u32_e32 v13, vcc_lo, 0, v17, vcc_lo
	v_add_co_u32 v6, vcc_lo, v10, v6
	v_add_co_ci_u32_e32 v10, vcc_lo, 0, v13, vcc_lo
	v_add_co_u32 v6, vcc_lo, v4, v6
	v_add_co_ci_u32_e32 v10, vcc_lo, v5, v10, vcc_lo
	v_mul_hi_u32 v17, v11, v6
	v_mad_u64_u32 v[13:14], null, v12, v6, 0
	v_mad_u64_u32 v[4:5], null, v11, v10, 0
	;; [unrolled: 1-line block ×3, first 2 shown]
	v_add_co_u32 v4, vcc_lo, v17, v4
	v_add_co_ci_u32_e32 v5, vcc_lo, 0, v5, vcc_lo
	v_add_co_u32 v4, vcc_lo, v4, v13
	v_add_co_ci_u32_e32 v4, vcc_lo, v5, v14, vcc_lo
	v_add_co_ci_u32_e32 v5, vcc_lo, 0, v16, vcc_lo
	v_add_co_u32 v10, vcc_lo, v4, v15
	v_add_co_ci_u32_e32 v6, vcc_lo, 0, v5, vcc_lo
	v_mul_lo_u32 v13, s25, v10
	v_mad_u64_u32 v[4:5], null, s24, v10, 0
	v_mul_lo_u32 v14, s24, v6
	v_sub_co_u32 v4, vcc_lo, v11, v4
	v_add3_u32 v5, v5, v14, v13
	v_sub_nc_u32_e32 v13, v12, v5
	v_subrev_co_ci_u32_e64 v13, s0, s25, v13, vcc_lo
	v_add_co_u32 v14, s0, v10, 2
	v_add_co_ci_u32_e64 v15, s0, 0, v6, s0
	v_sub_co_u32 v16, s0, v4, s24
	v_sub_co_ci_u32_e32 v5, vcc_lo, v12, v5, vcc_lo
	v_subrev_co_ci_u32_e64 v13, s0, 0, v13, s0
	v_cmp_le_u32_e32 vcc_lo, s24, v16
	v_cmp_eq_u32_e64 s0, s25, v5
	v_cndmask_b32_e64 v16, 0, -1, vcc_lo
	v_cmp_le_u32_e32 vcc_lo, s25, v13
	v_cndmask_b32_e64 v17, 0, -1, vcc_lo
	v_cmp_le_u32_e32 vcc_lo, s24, v4
	;; [unrolled: 2-line block ×3, first 2 shown]
	v_cndmask_b32_e64 v18, 0, -1, vcc_lo
	v_cmp_eq_u32_e32 vcc_lo, s25, v13
	v_cndmask_b32_e64 v4, v18, v4, s0
	v_cndmask_b32_e32 v13, v17, v16, vcc_lo
	v_add_co_u32 v16, vcc_lo, v10, 1
	v_add_co_ci_u32_e32 v17, vcc_lo, 0, v6, vcc_lo
	v_cmp_ne_u32_e32 vcc_lo, 0, v13
	v_cndmask_b32_e32 v5, v17, v15, vcc_lo
	v_cndmask_b32_e32 v13, v16, v14, vcc_lo
	v_cmp_ne_u32_e32 vcc_lo, 0, v4
	v_cndmask_b32_e32 v6, v6, v5, vcc_lo
	v_cndmask_b32_e32 v5, v10, v13, vcc_lo
.LBB0_4:                                ;   in Loop: Header=BB0_2 Depth=1
	s_andn2_saveexec_b32 s0, s1
	s_cbranch_execz .LBB0_6
; %bb.5:                                ;   in Loop: Header=BB0_2 Depth=1
	v_cvt_f32_u32_e32 v4, s24
	s_sub_i32 s1, 0, s24
	v_rcp_iflag_f32_e32 v4, v4
	v_mul_f32_e32 v4, 0x4f7ffffe, v4
	v_cvt_u32_f32_e32 v4, v4
	v_mul_lo_u32 v5, s1, v4
	v_mul_hi_u32 v5, v4, v5
	v_add_nc_u32_e32 v4, v4, v5
	v_mul_hi_u32 v4, v11, v4
	v_mul_lo_u32 v5, v4, s24
	v_add_nc_u32_e32 v6, 1, v4
	v_sub_nc_u32_e32 v5, v11, v5
	v_subrev_nc_u32_e32 v10, s24, v5
	v_cmp_le_u32_e32 vcc_lo, s24, v5
	v_cndmask_b32_e32 v5, v5, v10, vcc_lo
	v_cndmask_b32_e32 v4, v4, v6, vcc_lo
	v_cmp_le_u32_e32 vcc_lo, s24, v5
	v_add_nc_u32_e32 v6, 1, v4
	v_cndmask_b32_e32 v5, v4, v6, vcc_lo
	v_mov_b32_e32 v6, v9
.LBB0_6:                                ;   in Loop: Header=BB0_2 Depth=1
	s_or_b32 exec_lo, exec_lo, s0
	v_mul_lo_u32 v4, v6, s24
	v_mul_lo_u32 v10, v5, s25
	s_load_dwordx2 s[0:1], s[6:7], 0x0
	v_mad_u64_u32 v[13:14], null, v5, s24, 0
	s_load_dwordx2 s[24:25], s[2:3], 0x0
	s_add_u32 s22, s22, 1
	s_addc_u32 s23, s23, 0
	s_add_u32 s2, s2, 8
	s_addc_u32 s3, s3, 0
	s_add_u32 s6, s6, 8
	v_add3_u32 v4, v14, v10, v4
	v_sub_co_u32 v10, vcc_lo, v11, v13
	s_addc_u32 s7, s7, 0
	s_add_u32 s20, s20, 8
	v_sub_co_ci_u32_e32 v4, vcc_lo, v12, v4, vcc_lo
	s_addc_u32 s21, s21, 0
	s_waitcnt lgkmcnt(0)
	v_mul_lo_u32 v11, s0, v4
	v_mul_lo_u32 v12, s1, v10
	v_mad_u64_u32 v[7:8], null, s0, v10, v[7:8]
	v_mul_lo_u32 v4, s24, v4
	v_mul_lo_u32 v13, s25, v10
	v_mad_u64_u32 v[1:2], null, s24, v10, v[1:2]
	v_cmp_ge_u64_e64 s0, s[22:23], s[14:15]
	v_add3_u32 v8, v12, v8, v11
	v_add3_u32 v2, v13, v2, v4
	s_and_b32 vcc_lo, exec_lo, s0
	s_cbranch_vccnz .LBB0_8
; %bb.7:                                ;   in Loop: Header=BB0_2 Depth=1
	v_mov_b32_e32 v12, v6
	v_mov_b32_e32 v11, v5
	s_branch .LBB0_2
.LBB0_8:
	s_load_dwordx2 s[0:1], s[4:5], 0x28
	v_mul_hi_u32 v4, 0xaaaaaaab, v3
	s_lshl_b64 s[4:5], s[14:15], 3
	s_add_u32 s2, s18, s4
	s_addc_u32 s3, s19, s5
	v_lshrrev_b32_e32 v4, 1, v4
	v_lshl_add_u32 v9, v4, 1, v4
	v_mul_hi_u32 v4, 0x3c3c3c4, v0
	v_sub_nc_u32_e32 v9, v3, v9
	s_waitcnt lgkmcnt(0)
	v_cmp_gt_u64_e32 vcc_lo, s[0:1], v[5:6]
	v_cmp_le_u64_e64 s0, s[0:1], v[5:6]
                                        ; implicit-def: $vgpr3
	s_and_saveexec_b32 s1, s0
	s_xor_b32 s0, exec_lo, s1
; %bb.9:
	v_mul_u32_u24_e32 v3, 0x44, v4
                                        ; implicit-def: $vgpr4
                                        ; implicit-def: $vgpr7_vgpr8
	v_sub_nc_u32_e32 v3, v0, v3
                                        ; implicit-def: $vgpr0
; %bb.10:
	s_or_saveexec_b32 s1, s0
	v_mul_u32_u24_e32 v9, 0x2ed, v9
	v_lshlrev_b32_e32 v27, 2, v9
	s_xor_b32 exec_lo, exec_lo, s1
	s_cbranch_execz .LBB0_12
; %bb.11:
	s_add_u32 s4, s16, s4
	s_addc_u32 s5, s17, s5
	v_lshlrev_b64 v[7:8], 2, v[7:8]
	s_load_dwordx2 s[4:5], s[4:5], 0x0
	s_waitcnt lgkmcnt(0)
	v_mul_lo_u32 v3, s5, v5
	v_mul_lo_u32 v11, s4, v6
	v_mad_u64_u32 v[9:10], null, s4, v5, 0
	v_add3_u32 v10, v10, v11, v3
	v_mul_u32_u24_e32 v3, 0x44, v4
	v_lshlrev_b64 v[9:10], 2, v[9:10]
	v_sub_nc_u32_e32 v3, v0, v3
	v_lshlrev_b32_e32 v11, 2, v3
	v_add_co_u32 v0, s0, s8, v9
	v_add_co_ci_u32_e64 v4, s0, s9, v10, s0
	v_add_co_u32 v0, s0, v0, v7
	v_add_co_ci_u32_e64 v4, s0, v4, v8, s0
	;; [unrolled: 2-line block ×4, first 2 shown]
	s_clause 0xa
	global_load_dword v0, v[7:8], off
	global_load_dword v4, v[7:8], off offset:272
	global_load_dword v12, v[7:8], off offset:544
	;; [unrolled: 1-line block ×10, first 2 shown]
	v_add3_u32 v10, 0, v27, v11
	v_add_nc_u32_e32 v11, 0x400, v10
	v_add_nc_u32_e32 v18, 0x800, v10
	s_waitcnt vmcnt(9)
	ds_write2_b32 v10, v0, v4 offset1:68
	s_waitcnt vmcnt(7)
	ds_write2_b32 v10, v12, v13 offset0:136 offset1:204
	s_waitcnt vmcnt(5)
	ds_write2_b32 v11, v14, v15 offset0:16 offset1:84
	;; [unrolled: 2-line block ×4, first 2 shown]
	s_waitcnt vmcnt(0)
	ds_write_b32 v10, v9 offset:2720
.LBB0_12:
	s_or_b32 exec_lo, exec_lo, s1
	v_lshlrev_b32_e32 v4, 2, v3
	s_waitcnt lgkmcnt(0)
	s_barrier
	buffer_gl0_inv
	v_mov_b32_e32 v54, 0x3bb2
	v_add3_u32 v26, 0, v4, v27
	v_mov_b32_e32 v55, 0x3b29
	v_mov_b32_e32 v56, 0xb5c8
	;; [unrolled: 1-line block ×4, first 2 shown]
	v_add_nc_u32_e32 v0, 0x800, v26
	v_add_nc_u32_e32 v28, 0x200, v26
	;; [unrolled: 1-line block ×4, first 2 shown]
	ds_read2_b32 v[23:24], v26 offset0:44 offset1:88
	ds_read2_b32 v[9:10], v0 offset0:148 offset1:192
	;; [unrolled: 1-line block ×4, first 2 shown]
	v_add_nc_u32_e32 v0, 0, v27
	ds_read2_b32 v[15:16], v28 offset0:92 offset1:136
	ds_read2_b32 v[13:14], v29 offset0:100 offset1:144
	v_mov_b32_e32 v73, 0x3a62
	v_mov_b32_e32 v72, 0x3bf7
	v_mov_b32_e32 v57, 0xb964
	v_add_nc_u32_e32 v25, v0, v4
	v_mov_b32_e32 v45, 0xb1e1
	v_mov_b32_e32 v75, 0x3964
	;; [unrolled: 1-line block ×4, first 2 shown]
	ds_read_b32 v34, v25
	ds_read2_b32 v[19:20], v7 offset0:52 offset1:96
	ds_read2_b32 v[17:18], v7 offset0:140 offset1:184
	s_mov_b32 s1, exec_lo
	s_waitcnt lgkmcnt(0)
	s_barrier
	buffer_gl0_inv
	v_pk_add_f16 v43, v10, v23 op_sel:[1,1] op_sel_hi:[0,0]
	v_pk_add_f16 v64, v23, v10 op_sel:[1,1] op_sel_hi:[0,0] neg_lo:[0,1] neg_hi:[0,1]
	v_pk_add_f16 v62, v24, v9 neg_lo:[0,1] neg_hi:[0,1]
	v_pk_add_f16 v39, v9, v24
	v_pk_add_f16 v61, v21, v12 neg_lo:[0,1] neg_hi:[0,1]
	v_lshrrev_b32_e32 v40, 16, v43
	v_mul_f16_e32 v77, 0xba62, v64
	v_mul_f16_e32 v84, 0xb836, v64
	v_mul_f16_sdwa v74, v62, v54 dst_sel:DWORD dst_unused:UNUSED_PAD src0_sel:WORD_1 src1_sel:DWORD
	v_pk_add_f16 v38, v12, v21
	v_pk_add_f16 v60, v22, v11 neg_lo:[0,1] neg_hi:[0,1]
	v_fmamk_f16 v8, v40, 0xb8d2, v77
	v_mul_f16_sdwa v83, v62, v55 dst_sel:DWORD dst_unused:UNUSED_PAD src0_sel:WORD_1 src1_sel:DWORD
	v_mul_f16_sdwa v70, v61, v56 dst_sel:DWORD dst_unused:UNUSED_PAD src0_sel:WORD_1 src1_sel:DWORD
	v_fmamk_f16 v30, v40, 0xbacd, v84
	v_fmamk_f16 v31, v39, 0xb461, v74
	v_add_f16_e32 v8, v34, v8
	v_pk_add_f16 v37, v11, v22
	v_pk_add_f16 v59, v15, v14 neg_lo:[0,1] neg_hi:[0,1]
	v_mul_f16_sdwa v82, v61, v52 dst_sel:DWORD dst_unused:UNUSED_PAD src0_sel:WORD_1 src1_sel:DWORD
	v_mul_f16_sdwa v69, v60, v50 dst_sel:DWORD dst_unused:UNUSED_PAD src0_sel:WORD_1 src1_sel:DWORD
	v_fmamk_f16 v7, v39, 0x3722, v83
	v_add_f16_e32 v30, v34, v30
	v_fmamk_f16 v32, v38, 0x3b76, v70
	v_add_f16_e32 v8, v31, v8
	v_pk_add_f16 v36, v14, v15
	v_pk_add_f16 v58, v16, v13 neg_lo:[0,1] neg_hi:[0,1]
	v_mul_f16_sdwa v66, v60, v73 dst_sel:DWORD dst_unused:UNUSED_PAD src0_sel:WORD_1 src1_sel:DWORD
	v_fmamk_f16 v31, v38, 0x2de8, v82
	v_add_f16_e32 v7, v7, v30
	v_mul_f16_sdwa v76, v59, v72 dst_sel:DWORD dst_unused:UNUSED_PAD src0_sel:WORD_1 src1_sel:DWORD
	v_fmamk_f16 v30, v37, 0xbacd, v69
	v_add_f16_e32 v8, v32, v8
	v_pk_add_f16 v35, v13, v16
	v_fmamk_f16 v32, v37, 0xb8d2, v66
	v_add_f16_e32 v7, v31, v7
	v_mul_f16_sdwa v80, v59, v56 dst_sel:DWORD dst_unused:UNUSED_PAD src0_sel:WORD_1 src1_sel:DWORD
	v_fmamk_f16 v31, v36, 0x2de8, v76
	v_add_f16_e32 v8, v30, v8
	v_mul_f16_sdwa v71, v58, v57 dst_sel:DWORD dst_unused:UNUSED_PAD src0_sel:WORD_1 src1_sel:DWORD
	v_pk_add_f16 v63, v19, v18 neg_lo:[0,1] neg_hi:[0,1]
	v_add_f16_e32 v7, v32, v7
	v_fmamk_f16 v30, v36, 0x3b76, v80
	v_mul_f16_sdwa v81, v58, v45 dst_sel:DWORD dst_unused:UNUSED_PAD src0_sel:WORD_1 src1_sel:DWORD
	v_add_f16_e32 v8, v31, v8
	v_fmamk_f16 v31, v35, 0x39e9, v71
	v_pk_add_f16 v41, v18, v19
	v_mul_f16_sdwa v78, v63, v45 dst_sel:DWORD dst_unused:UNUSED_PAD src0_sel:WORD_1 src1_sel:DWORD
	v_pk_add_f16 v65, v20, v17 neg_lo:[0,1] neg_hi:[0,1]
	v_add_f16_e32 v7, v30, v7
	v_fmamk_f16 v30, v35, 0xbbdd, v81
	v_add_f16_e32 v8, v31, v8
	v_fmamk_f16 v31, v41, 0xbbdd, v78
	v_mul_f16_sdwa v85, v63, v75 dst_sel:DWORD dst_unused:UNUSED_PAD src0_sel:WORD_1 src1_sel:DWORD
	v_pk_add_f16 v42, v17, v20
	v_mul_f16_sdwa v79, v65, v55 dst_sel:DWORD dst_unused:UNUSED_PAD src0_sel:WORD_1 src1_sel:DWORD
	v_add_f16_e32 v7, v30, v7
	v_add_f16_e32 v8, v31, v8
	v_fmamk_f16 v30, v41, 0x39e9, v85
	v_mul_f16_sdwa v88, v64, v67 dst_sel:DWORD dst_unused:UNUSED_PAD src0_sel:WORD_1 src1_sel:DWORD
	v_fmamk_f16 v31, v42, 0x3722, v79
	v_lshrrev_b32_e32 v44, 16, v39
	v_mul_f16_e32 v87, 0x3bb2, v62
	v_add_f16_e32 v7, v30, v7
	v_fma_f16 v30, v43, 0xb8d2, -v88
	v_add_f16_e32 v8, v31, v8
	v_pk_mul_f16 v31, 0xb836b1e1, v64
	v_fma_f16 v33, v44, 0xb461, -v87
	v_pk_mul_f16 v95, 0x37223b76, v39
	v_add_f16_sdwa v30, v34, v30 dst_sel:DWORD dst_unused:UNUSED_PAD src0_sel:WORD_1 src1_sel:DWORD
	v_mul_f16_sdwa v32, v64, v45 dst_sel:DWORD dst_unused:UNUSED_PAD src0_sel:WORD_1 src1_sel:DWORD
	v_pk_fma_f16 v46, 0xbbddbacd, v43, v31 op_sel:[0,0,1] op_sel_hi:[1,1,0] neg_lo:[0,0,1] neg_hi:[0,0,1]
	v_pk_mul_f16 v97, 0x2de8bacd, v38
	v_pk_fma_f16 v48, 0x35c83b29, v62, v95 op_sel:[0,0,1] op_sel_hi:[1,1,0] neg_lo:[0,1,0] neg_hi:[0,1,0]
	v_add_f16_e32 v30, v33, v30
	v_fma_f16 v47, v43, 0xbbdd, -v32
	v_pk_add_f16 v33, v34, v46 op_sel:[1,0] op_sel_hi:[0,1]
	v_mul_f16_e32 v51, 0x35c8, v62
	v_pk_fma_f16 v91, 0xb836bbf7, v61, v97 op_sel:[0,0,1] op_sel_hi:[1,1,0] neg_lo:[0,1,0] neg_hi:[0,1,0]
	v_pk_mul_f16 v94, 0xb8d239e9, v37
	v_add_f16_sdwa v47, v34, v47 dst_sel:DWORD dst_unused:UNUSED_PAD src0_sel:WORD_1 src1_sel:DWORD
	v_pk_add_f16 v33, v48, v33
	v_fma_f16 v49, v44, 0x3b76, -v51
	v_lshrrev_b32_e32 v46, 16, v38
	v_mul_f16_e32 v89, 0xb5c8, v61
	v_mul_f16_e32 v53, 0xb836, v61
	v_pk_add_f16 v33, v91, v33
	v_pk_fma_f16 v93, 0x39643a62, v60, v94 op_sel:[0,0,1] op_sel_hi:[1,1,0] neg_lo:[0,1,0] neg_hi:[0,1,0]
	v_pk_mul_f16 v96, 0x3b76b8d2, v36
	v_add_f16_e32 v48, v49, v47
	v_fma_f16 v49, v46, 0x3b76, -v89
	v_fma_f16 v92, v46, 0xbacd, -v53
	v_lshrrev_b32_e32 v47, 16, v37
	v_mul_f16_e32 v90, 0xb836, v60
	v_pk_add_f16 v33, v93, v33
	v_pk_fma_f16 v99, 0xba62b5c8, v59, v96 op_sel:[0,0,1] op_sel_hi:[1,1,0] neg_lo:[0,1,0] neg_hi:[0,1,0]
	v_add_f16_e32 v30, v49, v30
	v_add_f16_e32 v49, v92, v48
	v_fma_f16 v92, v47, 0xbacd, -v90
	v_mul_f16_e32 v98, 0x3964, v60
	v_lshrrev_b32_e32 v48, 16, v36
	v_mul_f16_e32 v91, 0x3bf7, v59
	v_pk_add_f16 v33, v99, v33
	v_pk_fma_f16 v99, 0xbbddbacd, v43, v31 op_sel:[0,0,1] op_sel_hi:[1,1,0]
	v_mul_f16_e32 v31, 0x3b76, v44
	v_add_f16_e32 v30, v92, v30
	v_fma_f16 v92, v47, 0x39e9, -v98
	v_fma_f16 v93, v48, 0x2de8, -v91
	v_mul_f16_e32 v106, 0xba62, v59
	v_perm_b32 v51, v34, v51, 0x5040100
	v_bfi_b32 v31, 0xffff, v31, v99
	v_add_f16_e32 v101, v92, v49
	v_add_f16_e32 v30, v93, v30
	v_fma_f16 v93, v48, 0xb8d2, -v106
	v_fmamk_f16 v32, v43, 0xbbdd, v32
	v_pk_mul_f16 v100, 0x35c83b29, v62
	v_pk_add_f16 v31, v51, v31
	v_pk_mul_f16 v102, 0xb836bbf7, v61
	v_mul_f16_e32 v51, 0xbacd, v46
	v_lshrrev_b32_e32 v49, 16, v35
	v_mul_f16_e32 v92, 0xb964, v58
	v_add_f16_e32 v93, v93, v101
	v_bfi_b32 v32, 0xffff, v32, v100
	v_alignbit_b32 v101, v95, v34, 16
	v_pack_b32_f16 v53, v53, v97
	v_bfi_b32 v51, 0xffff, v51, v102
	v_fma_f16 v103, v49, 0x39e9, -v92
	v_mul_f16_e32 v107, 0x3b29, v58
	v_pk_add_f16 v32, v101, v32
	v_pk_mul_f16 v101, 0xbbdd3722, v35
	v_pk_add_f16 v51, v53, v51
	v_pk_mul_f16 v104, 0x39643a62, v60
	v_mul_f16_e32 v53, 0x39e9, v47
	v_add_f16_e32 v30, v103, v30
	v_pk_fma_f16 v103, 0x3b29b1e1, v58, v101 op_sel:[0,0,1] op_sel_hi:[1,1,0] neg_lo:[0,1,0] neg_hi:[0,1,0]
	v_pk_add_f16 v31, v32, v31
	v_fma_f16 v32, v49, 0x3722, -v107
	v_pack_b32_f16 v98, v98, v94
	v_bfi_b32 v53, 0xffff, v53, v104
	v_pk_add_f16 v33, v103, v33
	v_pk_add_f16 v31, v51, v31
	v_add_f16_e32 v32, v32, v93
	v_lshrrev_b32_e32 v51, 16, v41
	v_mul_f16_e32 v93, 0xb1e1, v63
	v_pk_mul_f16 v105, 0xba62b5c8, v59
	v_mul_f16_e32 v108, 0xb8d2, v48
	v_pk_add_f16 v53, v98, v53
	v_pk_mul_f16 v103, 0x39e9b461, v41
	v_fma_f16 v98, v51, 0xbbdd, -v93
	v_pack_b32_f16 v109, v106, v96
	v_bfi_b32 v108, 0xffff, v108, v105
	v_pk_add_f16 v31, v53, v31
	v_pk_fma_f16 v53, 0xbbb23964, v63, v103 op_sel:[0,0,1] op_sel_hi:[1,1,0] neg_lo:[0,1,0] neg_hi:[0,1,0]
	v_pk_mul_f16 v106, 0x3b29b1e1, v58
	v_mul_f16_e32 v111, 0x3722, v49
	v_pk_add_f16 v108, v109, v108
	v_add_f16_e32 v30, v98, v30
	v_pk_add_f16 v33, v53, v33
	v_pack_b32_f16 v53, v107, v101
	v_bfi_b32 v98, 0xffff, v111, v106
	v_pk_add_f16 v31, v108, v31
	v_mul_f16_e32 v108, 0xbbb2, v63
	v_pk_mul_f16 v107, 0xbbb23964, v63
	v_mul_f16_e32 v109, 0xb461, v51
	v_pk_add_f16 v98, v53, v98
	v_lshrrev_b32_e32 v53, 16, v42
	v_fma_f16 v111, v51, 0xb461, -v108
	v_pack_b32_f16 v112, v108, v103
	v_bfi_b32 v113, 0xffff, v109, v107
	v_pk_mul_f16 v108, 0x3bf7bbb2, v65
	v_mul_f16_e32 v114, 0x2de8, v53
	v_pk_mul_f16 v109, 0xb4612de8, v42
	v_mul_f16_e32 v115, 0x3bf7, v65
	v_mul_f16_sdwa v86, v65, v68 dst_sel:DWORD dst_unused:UNUSED_PAD src0_sel:WORD_1 src1_sel:DWORD
	v_pk_add_f16 v31, v98, v31
	v_mul_f16_e32 v98, 0x3b29, v65
	v_pk_add_f16 v112, v112, v113
	v_bfi_b32 v113, 0xffff, v114, v108
	v_pack_b32_f16 v114, v115, v109
	v_fmamk_f16 v110, v42, 0xb461, v86
	v_add_f16_e32 v111, v111, v32
	v_fma_f16 v32, v53, 0x3722, -v98
	v_pk_add_f16 v112, v112, v31
	v_pk_fma_f16 v116, 0x3bf7bbb2, v65, v109 op_sel:[0,0,1] op_sel_hi:[1,1,0] neg_lo:[0,1,0] neg_hi:[0,1,0]
	v_pk_add_f16 v113, v114, v113
	v_fma_f16 v114, v53, 0x2de8, -v115
	v_add_f16_e32 v7, v110, v7
	v_add_f16_e32 v31, v32, v30
	v_pk_add_f16 v32, v116, v33
	v_pk_add_f16 v30, v113, v112
	v_add_f16_e32 v33, v114, v111
	v_cmpx_gt_u32_e32 44, v3
	s_cbranch_execz .LBB0_14
; %bb.13:
	v_alignbit_b32 v110, v34, v34, 16
	v_alignbit_b32 v95, v95, v95, 16
	;; [unrolled: 1-line block ×5, first 2 shown]
	v_add_f16_e32 v99, v110, v99
	v_add_f16_e32 v95, v100, v95
	;; [unrolled: 1-line block ×4, first 2 shown]
	v_mul_f16_e32 v113, 0xbacd, v40
	v_alignbit_b32 v101, v101, v101, 16
	v_add_f16_e32 v95, v95, v99
	v_mul_f16_e32 v116, 0x3722, v39
	v_mul_f16_e32 v111, 0xb8d2, v40
	v_sub_f16_e32 v84, v113, v84
	v_mul_f16_e32 v112, 0xb8d2, v43
	v_add_f16_e32 v95, v97, v95
	v_mul_f16_e32 v119, 0x2de8, v38
	v_sub_f16_e32 v83, v116, v83
	v_add_f16_e32 v84, v34, v84
	v_mul_f16_e32 v114, 0xb461, v39
	v_add_f16_e32 v94, v94, v95
	v_add_f16_e32 v95, v105, v96
	v_mul_f16_e32 v115, 0xb461, v44
	v_mul_f16_e32 v120, 0xb8d2, v37
	v_add_f16_e32 v83, v83, v84
	v_sub_f16_e32 v82, v119, v82
	v_add_f16_e32 v94, v95, v94
	v_add_f16_e32 v95, v106, v101
	v_alignbit_b32 v101, v103, v103, 16
	v_add_f16_e32 v88, v88, v112
	v_sub_f16_e32 v77, v111, v77
	v_mul_f16_e32 v117, 0x3b76, v38
	v_add_f16_e32 v94, v95, v94
	v_add_f16_e32 v95, v107, v101
	v_alignbit_b32 v101, v109, v109, 16
	v_mul_f16_e32 v118, 0x3b76, v46
	v_mul_f16_e32 v121, 0x3b76, v36
	v_add_f16_e32 v82, v82, v83
	v_add_f16_e32 v84, v95, v94
	;; [unrolled: 1-line block ×3, first 2 shown]
	v_sub_f16_e32 v83, v120, v66
	v_add_f16_e32 v87, v87, v115
	v_add_f16_e32 v77, v34, v77
	v_sub_f16_e32 v74, v114, v74
	v_add_f16_e32 v66, v94, v84
	v_add_f16_sdwa v84, v34, v88 dst_sel:DWORD dst_unused:UNUSED_PAD src0_sel:WORD_1 src1_sel:DWORD
	v_mul_f16_e32 v100, 0xbacd, v37
	v_mul_f16_e32 v110, 0xbacd, v47
	v_add_f16_e32 v82, v83, v82
	v_sub_f16_e32 v80, v121, v80
	v_add_f16_e32 v83, v87, v84
	v_add_f16_e32 v84, v89, v118
	;; [unrolled: 1-line block ×3, first 2 shown]
	v_sub_f16_e32 v70, v117, v70
	v_mul_f16_e32 v99, 0x2de8, v36
	v_mul_f16_e32 v102, 0x2de8, v48
	v_add_f16_e32 v80, v80, v82
	v_add_f16_e32 v77, v84, v83
	;; [unrolled: 1-line block ×4, first 2 shown]
	v_sub_f16_e32 v69, v100, v69
	v_mul_f16_e32 v97, 0x39e9, v35
	v_mul_f16_e32 v104, 0x39e9, v49
	;; [unrolled: 1-line block ×3, first 2 shown]
	v_add_f16_e32 v74, v82, v77
	v_add_f16_e32 v77, v91, v102
	;; [unrolled: 1-line block ×3, first 2 shown]
	v_sub_f16_e32 v76, v99, v76
	v_mul_f16_sdwa v89, v64, v68 dst_sel:DWORD dst_unused:UNUSED_PAD src0_sel:WORD_1 src1_sel:DWORD
	v_mul_f16_e32 v96, 0xbbdd, v41
	v_mul_f16_e32 v105, 0xbbdd, v51
	;; [unrolled: 1-line block ×3, first 2 shown]
	v_sub_f16_e32 v81, v122, v81
	v_add_f16_e32 v74, v77, v74
	v_add_f16_e32 v77, v92, v104
	;; [unrolled: 1-line block ×3, first 2 shown]
	v_sub_f16_e32 v71, v97, v71
	v_fmamk_f16 v76, v43, 0xb461, v89
	v_mul_f16_e32 v91, 0x3836, v62
	v_mul_f16_e32 v106, 0x3722, v53
	;; [unrolled: 1-line block ×3, first 2 shown]
	v_add_f16_e32 v80, v81, v80
	v_sub_f16_e32 v81, v123, v85
	v_add_f16_e32 v74, v77, v74
	v_add_f16_e32 v77, v93, v105
	;; [unrolled: 1-line block ×3, first 2 shown]
	v_sub_f16_e32 v71, v96, v78
	v_add_f16_sdwa v76, v34, v76 dst_sel:DWORD dst_unused:UNUSED_PAD src0_sel:WORD_1 src1_sel:DWORD
	v_fmamk_f16 v78, v44, 0xbacd, v91
	v_mul_f16_e32 v92, 0x3964, v61
	v_mul_f16_e32 v103, 0x3722, v42
	v_add_f16_e32 v80, v81, v80
	v_sub_f16_e32 v81, v95, v86
	v_add_f16_e32 v74, v77, v74
	v_add_f16_e32 v77, v98, v106
	;; [unrolled: 1-line block ×4, first 2 shown]
	v_fmamk_f16 v76, v46, 0x39e9, v92
	v_mul_f16_e32 v90, 0xbb29, v60
	v_mul_f16_e32 v85, 0xbbb2, v64
	v_mov_b32_e32 v93, 0x3836
	v_add_f16_e32 v69, v81, v80
	v_sub_f16_e32 v78, v103, v79
	v_add_f16_e32 v76, v76, v70
	v_fmamk_f16 v80, v47, 0x3722, v90
	v_add_f16_e32 v70, v77, v74
	v_fma_f16 v74, v40, 0xb461, -v85
	v_mul_f16_sdwa v79, v62, v93 dst_sel:DWORD dst_unused:UNUSED_PAD src0_sel:WORD_1 src1_sel:DWORD
	v_mul_f16_e32 v94, 0xb1e1, v59
	v_add_f16_e32 v77, v80, v76
	v_mul_f16_sdwa v80, v61, v75 dst_sel:DWORD dst_unused:UNUSED_PAD src0_sel:WORD_1 src1_sel:DWORD
	v_add_f16_e32 v74, v34, v74
	v_fma_f16 v76, v39, 0xbacd, -v79
	v_mov_b32_e32 v95, 0xbb29
	v_add_f16_e32 v71, v78, v71
	v_fmamk_f16 v78, v48, 0xbbdd, v94
	v_mul_f16_e32 v96, 0x3bf7, v58
	v_add_f16_e32 v74, v76, v74
	v_fma_f16 v81, v38, 0x39e9, -v80
	v_mul_f16_sdwa v76, v60, v95 dst_sel:DWORD dst_unused:UNUSED_PAD src0_sel:WORD_1 src1_sel:DWORD
	v_add_f16_e32 v78, v78, v77
	v_fmamk_f16 v82, v49, 0x2de8, v96
	v_mul_f16_e32 v87, 0xb5c8, v63
	v_add_f16_e32 v74, v81, v74
	v_fma_f16 v81, v37, 0x3722, -v76
	v_mul_f16_sdwa v77, v59, v45 dst_sel:DWORD dst_unused:UNUSED_PAD src0_sel:WORD_1 src1_sel:DWORD
	v_add_f16_e32 v82, v82, v78
	v_fmamk_f16 v84, v51, 0x3b76, v87
	v_mul_f16_sdwa v78, v58, v72 dst_sel:DWORD dst_unused:UNUSED_PAD src0_sel:WORD_1 src1_sel:DWORD
	v_add_f16_e32 v74, v81, v74
	v_fma_f16 v81, v36, 0xbbdd, -v77
	v_mul_f16_sdwa v97, v64, v52 dst_sel:DWORD dst_unused:UNUSED_PAD src0_sel:WORD_1 src1_sel:DWORD
	v_add_f16_e32 v72, v84, v82
	v_fma_f16 v84, v35, 0x2de8, -v78
	v_mul_f16_e32 v98, 0xb1e1, v62
	v_add_f16_e32 v74, v81, v74
	v_fmamk_f16 v86, v43, 0x2de8, v97
	v_mul_f16_sdwa v81, v63, v56 dst_sel:DWORD dst_unused:UNUSED_PAD src0_sel:WORD_1 src1_sel:DWORD
	v_mul_f16_e32 v99, 0x3bb2, v61
	v_mul_f16_e32 v100, 0xbbf7, v64
	v_add_f16_e32 v74, v84, v74
	v_add_f16_sdwa v84, v34, v86 dst_sel:DWORD dst_unused:UNUSED_PAD src0_sel:WORD_1 src1_sel:DWORD
	v_fmamk_f16 v86, v44, 0xbbdd, v98
	v_fma_f16 v88, v41, 0x3b76, -v81
	v_mul_f16_e32 v103, 0x35c8, v60
	v_mul_f16_sdwa v101, v62, v45 dst_sel:DWORD dst_unused:UNUSED_PAD src0_sel:WORD_1 src1_sel:DWORD
	v_mul_f16_e32 v107, 0xbb29, v59
	v_add_f16_e32 v84, v86, v84
	v_fmamk_f16 v86, v46, 0xb461, v99
	v_add_f16_e32 v74, v88, v74
	v_fma_f16 v88, v40, 0x2de8, -v100
	v_fmamk_f16 v106, v47, 0x3b76, v103
	v_mul_f16_e32 v83, 0xba62, v65
	v_add_f16_e32 v84, v86, v84
	v_mul_f16_sdwa v104, v61, v54 dst_sel:DWORD dst_unused:UNUSED_PAD src0_sel:WORD_1 src1_sel:DWORD
	v_add_f16_e32 v86, v34, v88
	v_fma_f16 v88, v39, 0xbbdd, -v101
	v_mov_b32_e32 v105, 0x35c8
	v_add_f16_e32 v84, v106, v84
	v_fmamk_f16 v106, v48, 0x3722, v107
	v_mul_f16_e32 v109, 0xb836, v58
	v_fmamk_f16 v82, v53, 0xb8d2, v83
	v_add_f16_e32 v86, v88, v86
	v_fma_f16 v88, v38, 0xb461, -v104
	v_mul_f16_sdwa v108, v60, v105 dst_sel:DWORD dst_unused:UNUSED_PAD src0_sel:WORD_1 src1_sel:DWORD
	v_add_f16_e32 v84, v106, v84
	v_fmamk_f16 v106, v49, 0xbacd, v109
	v_mul_f16_e32 v111, 0x3a62, v63
	v_add_f16_e32 v72, v82, v72
	v_mul_f16_sdwa v82, v65, v67 dst_sel:DWORD dst_unused:UNUSED_PAD src0_sel:WORD_1 src1_sel:DWORD
	v_add_f16_e32 v86, v88, v86
	v_fma_f16 v88, v37, 0x3b76, -v108
	v_mul_f16_sdwa v110, v59, v95 dst_sel:DWORD dst_unused:UNUSED_PAD src0_sel:WORD_1 src1_sel:DWORD
	v_add_f16_e32 v84, v106, v84
	v_fmamk_f16 v106, v51, 0xb8d2, v111
	v_mul_f16_e32 v113, 0x3964, v65
	v_fma_f16 v102, v42, 0xb8d2, -v82
	v_add_f16_e32 v86, v88, v86
	v_fma_f16 v112, v36, 0x3722, -v110
	v_mul_f16_sdwa v88, v58, v50 dst_sel:DWORD dst_unused:UNUSED_PAD src0_sel:WORD_1 src1_sel:DWORD
	v_add_f16_e32 v84, v106, v84
	v_fmamk_f16 v106, v53, 0x39e9, v113
	v_mul_f16_sdwa v115, v64, v95 dst_sel:DWORD dst_unused:UNUSED_PAD src0_sel:WORD_1 src1_sel:DWORD
	v_add_f16_e32 v112, v112, v86
	v_fma_f16 v114, v35, 0xbacd, -v88
	v_mul_f16_sdwa v86, v63, v73 dst_sel:DWORD dst_unused:UNUSED_PAD src0_sel:WORD_1 src1_sel:DWORD
	v_add_f16_e32 v73, v102, v74
	v_add_f16_e32 v74, v106, v84
	v_mul_f16_e32 v106, 0xbb29, v64
	v_add_f16_e32 v112, v114, v112
	v_fma_f16 v114, v41, 0xb8d2, -v86
	v_mul_f16_sdwa v117, v62, v67 dst_sel:DWORD dst_unused:UNUSED_PAD src0_sel:WORD_1 src1_sel:DWORD
	v_mov_b32_e32 v118, 0x31e1
	v_fma_f16 v116, v40, 0x3722, -v106
	v_fmamk_f16 v102, v43, 0x3722, v115
	v_add_f16_e32 v112, v114, v112
	v_mul_f16_e32 v114, 0xba62, v62
	v_fma_f16 v121, v39, 0xb8d2, -v117
	v_add_f16_e32 v116, v34, v116
	v_mul_f16_sdwa v118, v61, v118 dst_sel:DWORD dst_unused:UNUSED_PAD src0_sel:WORD_1 src1_sel:DWORD
	v_add_f16_sdwa v102, v34, v102 dst_sel:DWORD dst_unused:UNUSED_PAD src0_sel:WORD_1 src1_sel:DWORD
	v_fmamk_f16 v119, v44, 0xb8d2, v114
	v_mul_f16_e32 v120, 0x31e1, v61
	v_add_f16_e32 v116, v121, v116
	v_fma_f16 v121, v38, 0xbbdd, -v118
	v_mul_f16_sdwa v123, v60, v54 dst_sel:DWORD dst_unused:UNUSED_PAD src0_sel:WORD_1 src1_sel:DWORD
	v_add_f16_e32 v102, v119, v102
	v_fmamk_f16 v119, v46, 0xbbdd, v120
	v_mul_f16_e32 v122, 0x3bb2, v60
	v_add_f16_e32 v116, v121, v116
	v_fma_f16 v121, v37, 0xb461, -v123
	v_mul_f16_sdwa v125, v59, v75 dst_sel:DWORD dst_unused:UNUSED_PAD src0_sel:WORD_1 src1_sel:DWORD
	v_add_f16_e32 v102, v119, v102
	v_fmamk_f16 v119, v47, 0xb461, v122
	v_mul_f16_e32 v124, 0x3964, v59
	v_add_f16_e32 v116, v121, v116
	v_fma_f16 v121, v36, 0x39e9, -v125
	v_mul_f16_sdwa v126, v58, v56 dst_sel:DWORD dst_unused:UNUSED_PAD src0_sel:WORD_1 src1_sel:DWORD
	v_mul_f16_sdwa v84, v65, v75 dst_sel:DWORD dst_unused:UNUSED_PAD src0_sel:WORD_1 src1_sel:DWORD
	v_add_f16_e32 v75, v119, v102
	v_fmamk_f16 v102, v48, 0x39e9, v124
	v_mul_f16_e32 v119, 0xb5c8, v58
	v_add_f16_e32 v116, v121, v116
	v_fma_f16 v121, v35, 0x3b76, -v126
	v_mul_f16_sdwa v128, v63, v52 dst_sel:DWORD dst_unused:UNUSED_PAD src0_sel:WORD_1 src1_sel:DWORD
	v_add_f16_e32 v75, v102, v75
	v_fmamk_f16 v102, v49, 0x3b76, v119
	v_mul_f16_e32 v127, 0xbbf7, v63
	v_add_f16_e32 v116, v121, v116
	v_fma_f16 v121, v41, 0x2de8, -v128
	v_mul_f16_sdwa v130, v65, v50 dst_sel:DWORD dst_unused:UNUSED_PAD src0_sel:WORD_1 src1_sel:DWORD
	v_add_f16_e32 v75, v102, v75
	v_fmamk_f16 v102, v51, 0x2de8, v127
	v_mul_f16_e32 v129, 0xb836, v65
	v_fma_f16 v131, v42, 0x39e9, -v84
	v_mul_f16_sdwa v132, v64, v57 dst_sel:DWORD dst_unused:UNUSED_PAD src0_sel:WORD_1 src1_sel:DWORD
	v_add_f16_e32 v116, v121, v116
	v_fma_f16 v121, v42, 0xbacd, -v130
	v_add_f16_e32 v102, v102, v75
	v_fmamk_f16 v133, v53, 0xbacd, v129
	v_add_f16_e32 v75, v131, v112
	v_fmamk_f16 v112, v43, 0x39e9, v132
	v_mul_f16_e32 v131, 0xbbf7, v62
	v_add_f16_e32 v116, v121, v116
	v_mul_f16_e32 v121, 0xb964, v64
	v_add_f16_e32 v102, v133, v102
	v_add_f16_sdwa v112, v34, v112 dst_sel:DWORD dst_unused:UNUSED_PAD src0_sel:WORD_1 src1_sel:DWORD
	v_fmamk_f16 v133, v44, 0x2de8, v131
	v_mul_f16_e32 v134, 0xba62, v61
	v_pk_add_f16 v23, v34, v23
	v_fma_f16 v135, v40, 0x39e9, -v121
	v_mul_f16_sdwa v136, v62, v52 dst_sel:DWORD dst_unused:UNUSED_PAD src0_sel:WORD_1 src1_sel:DWORD
	v_add_f16_e32 v112, v133, v112
	v_fmamk_f16 v133, v46, 0xb8d2, v134
	v_pk_add_f16 v23, v23, v24
	v_add_f16_e32 v24, v34, v135
	v_fma_f16 v135, v39, 0x2de8, -v136
	v_mul_f16_sdwa v137, v61, v67 dst_sel:DWORD dst_unused:UNUSED_PAD src0_sel:WORD_1 src1_sel:DWORD
	v_add_f16_e32 v112, v133, v112
	v_pk_add_f16 v21, v23, v21
	v_mul_f16_e32 v23, 0xb1e1, v60
	v_add_f16_e32 v24, v135, v24
	v_fma_f16 v133, v38, 0xb8d2, -v137
	v_mul_f16_sdwa v135, v60, v45 dst_sel:DWORD dst_unused:UNUSED_PAD src0_sel:WORD_1 src1_sel:DWORD
	v_pk_add_f16 v21, v21, v22
	v_fmamk_f16 v22, v47, 0xbbdd, v23
	v_mul_f16_e32 v138, 0x3836, v59
	v_add_f16_e32 v24, v133, v24
	v_fma_f16 v133, v37, 0xbbdd, -v135
	v_mul_f16_sdwa v93, v59, v93 dst_sel:DWORD dst_unused:UNUSED_PAD src0_sel:WORD_1 src1_sel:DWORD
	v_add_f16_e32 v22, v22, v112
	v_fmamk_f16 v112, v48, 0xbacd, v138
	v_mul_f16_e32 v139, 0x3bb2, v58
	v_add_f16_e32 v24, v133, v24
	v_fma_f16 v133, v36, 0xbacd, -v93
	v_mul_f16_sdwa v54, v58, v54 dst_sel:DWORD dst_unused:UNUSED_PAD src0_sel:WORD_1 src1_sel:DWORD
	v_add_f16_e32 v22, v112, v22
	v_fmamk_f16 v112, v49, 0xb461, v139
	v_mul_f16_e32 v140, 0x3b29, v63
	v_add_f16_e32 v24, v133, v24
	v_fma_f16 v133, v35, 0xb461, -v54
	v_mul_f16_sdwa v55, v63, v55 dst_sel:DWORD dst_unused:UNUSED_PAD src0_sel:WORD_1 src1_sel:DWORD
	v_mul_f16_sdwa v56, v64, v56 dst_sel:DWORD dst_unused:UNUSED_PAD src0_sel:WORD_1 src1_sel:DWORD
	v_add_f16_e32 v22, v112, v22
	v_fmamk_f16 v112, v51, 0x3722, v140
	v_mul_f16_e32 v141, 0x35c8, v65
	v_add_f16_e32 v24, v133, v24
	v_fma_f16 v133, v41, 0x3722, -v55
	v_fmamk_f16 v142, v43, 0x3b76, v56
	v_mul_f16_e32 v143, 0xb964, v62
	v_add_f16_e32 v22, v112, v22
	v_fmamk_f16 v112, v53, 0x3b76, v141
	v_add_f16_e32 v24, v133, v24
	v_add_f16_sdwa v133, v34, v142 dst_sel:DWORD dst_unused:UNUSED_PAD src0_sel:WORD_1 src1_sel:DWORD
	v_fmamk_f16 v142, v44, 0x39e9, v143
	v_mul_f16_e32 v144, 0xbb29, v61
	v_mul_f16_sdwa v105, v65, v105 dst_sel:DWORD dst_unused:UNUSED_PAD src0_sel:WORD_1 src1_sel:DWORD
	v_add_f16_e32 v22, v112, v22
	v_mul_f16_e32 v64, 0xb5c8, v64
	v_add_f16_e32 v112, v142, v133
	v_fmamk_f16 v133, v46, 0x3722, v144
	v_mul_f16_e32 v142, 0xbbf7, v60
	v_fma_f16 v145, v42, 0x3b76, -v105
	v_mul_f16_sdwa v57, v62, v57 dst_sel:DWORD dst_unused:UNUSED_PAD src0_sel:WORD_1 src1_sel:DWORD
	v_mul_f16_sdwa v61, v61, v95 dst_sel:DWORD dst_unused:UNUSED_PAD src0_sel:WORD_1 src1_sel:DWORD
	v_add_f16_e32 v62, v133, v112
	v_fmamk_f16 v112, v47, 0x2de8, v142
	v_mul_f16_e32 v133, 0xbbb2, v59
	v_add_f16_e32 v24, v145, v24
	v_fma_f16 v145, v40, 0x3b76, -v64
	v_fma_f16 v146, v39, 0x39e9, -v57
	v_add_f16_e32 v62, v112, v62
	v_fmamk_f16 v95, v48, 0xb461, v133
	v_mul_f16_e32 v112, 0xba62, v58
	v_add_f16_e32 v145, v34, v145
	v_mul_f16_sdwa v52, v60, v52 dst_sel:DWORD dst_unused:UNUSED_PAD src0_sel:WORD_1 src1_sel:DWORD
	v_fma_f16 v89, v43, 0xb461, -v89
	v_add_f16_e32 v60, v95, v62
	v_fmamk_f16 v62, v49, 0xb8d2, v112
	v_add_f16_e32 v145, v146, v145
	v_fma_f16 v146, v38, 0x3722, -v61
	v_mul_f16_sdwa v59, v59, v68 dst_sel:DWORD dst_unused:UNUSED_PAD src0_sel:WORD_1 src1_sel:DWORD
	v_fma_f16 v68, v44, 0xbacd, -v91
	v_add_f16_e32 v60, v62, v60
	v_add_f16_sdwa v62, v34, v89 dst_sel:DWORD dst_unused:UNUSED_PAD src0_sel:WORD_1 src1_sel:DWORD
	v_add_f16_e32 v95, v146, v145
	v_fma_f16 v145, v37, 0x2de8, -v52
	v_mul_f16_sdwa v58, v58, v67 dst_sel:DWORD dst_unused:UNUSED_PAD src0_sel:WORD_1 src1_sel:DWORD
	v_fma_f16 v67, v46, 0x39e9, -v92
	v_add_f16_e32 v62, v68, v62
	v_fma_f16 v91, v36, 0xb461, -v59
	v_add_f16_e32 v89, v145, v95
	v_mul_f16_e32 v95, 0xb836, v63
	v_fmac_f16_e32 v85, 0xb461, v40
	v_add_f16_e32 v62, v67, v62
	v_fma_f16 v67, v47, 0x3722, -v90
	v_add_f16_e32 v68, v91, v89
	v_fmamk_f16 v89, v51, 0xbacd, v95
	v_mul_f16_sdwa v45, v65, v45 dst_sel:DWORD dst_unused:UNUSED_PAD src0_sel:WORD_1 src1_sel:DWORD
	v_fmac_f16_e32 v79, 0xbacd, v39
	v_add_f16_e32 v62, v67, v62
	v_fma_f16 v67, v48, 0xbbdd, -v94
	v_add_f16_e32 v60, v89, v60
	v_mul_f16_e32 v89, 0xb1e1, v65
	v_fma_f16 v65, v49, 0x2de8, -v96
	v_fmac_f16_e32 v80, 0x39e9, v38
	v_add_f16_e32 v62, v67, v62
	v_add_f16_e32 v67, v34, v85
	v_fma_f16 v85, v43, 0x2de8, -v97
	v_mul_f16_sdwa v50, v63, v50 dst_sel:DWORD dst_unused:UNUSED_PAD src0_sel:WORD_1 src1_sel:DWORD
	v_fma_f16 v63, v35, 0xb8d2, -v58
	v_add_f16_e32 v62, v65, v62
	v_fma_f16 v65, v51, 0x3b76, -v87
	v_add_f16_e32 v67, v79, v67
	v_add_f16_sdwa v79, v34, v85 dst_sel:DWORD dst_unused:UNUSED_PAD src0_sel:WORD_1 src1_sel:DWORD
	v_fma_f16 v85, v44, 0xbbdd, -v98
	v_fmac_f16_e32 v76, 0x3722, v37
	v_add_f16_e32 v62, v65, v62
	v_add_f16_e32 v65, v80, v67
	v_pk_add_f16 v15, v21, v15
	v_add_f16_e32 v67, v85, v79
	v_fma_f16 v21, v46, 0xb461, -v99
	v_fmac_f16_e32 v100, 0x2de8, v40
	v_add_f16_e32 v63, v63, v68
	v_fma_f16 v68, v41, 0xbacd, -v50
	v_add_f16_e32 v65, v76, v65
	v_add_f16_e32 v21, v21, v67
	v_fma_f16 v67, v47, 0x3b76, -v103
	v_add_f16_e32 v76, v34, v100
	v_fmac_f16_e32 v101, 0xbbdd, v39
	v_add_f16_e32 v63, v68, v63
	v_fma_f16 v68, v42, 0xbbdd, -v45
	v_add_f16_e32 v21, v67, v21
	v_fma_f16 v67, v48, 0x3722, -v107
	v_add_f16_e32 v76, v101, v76
	v_fmac_f16_e32 v104, 0xb461, v38
	v_add_f16_e32 v63, v68, v63
	v_fma_f16 v68, v53, 0xb8d2, -v83
	v_add_f16_e32 v21, v67, v21
	v_fma_f16 v67, v49, 0xbacd, -v109
	v_add_f16_e32 v76, v104, v76
	v_fmac_f16_e32 v108, 0x3b76, v37
	v_fmac_f16_e32 v77, 0xbbdd, v36
	;; [unrolled: 1-line block ×3, first 2 shown]
	v_add_f16_e32 v21, v67, v21
	v_fma_f16 v67, v51, 0xb8d2, -v111
	v_add_f16_e32 v76, v108, v76
	v_add_f16_e32 v62, v68, v62
	v_fma_f16 v68, v43, 0x3722, -v115
	v_add_f16_e32 v65, v77, v65
	v_fmac_f16_e32 v78, 0x2de8, v35
	v_add_f16_e32 v21, v67, v21
	v_add_f16_e32 v67, v110, v76
	v_add_f16_sdwa v68, v34, v68 dst_sel:DWORD dst_unused:UNUSED_PAD src0_sel:WORD_1 src1_sel:DWORD
	v_fma_f16 v76, v44, 0xb8d2, -v114
	v_fmac_f16_e32 v106, 0x3722, v40
	v_add_f16_e32 v65, v78, v65
	v_fma_f16 v77, v53, 0x39e9, -v113
	v_fmac_f16_e32 v117, 0xb8d2, v39
	v_add_f16_e32 v68, v76, v68
	v_fma_f16 v76, v46, 0xbbdd, -v120
	v_add_f16_e32 v78, v34, v106
	v_add_f16_e32 v21, v77, v21
	v_fmac_f16_e32 v118, 0xbbdd, v38
	v_pk_add_f16 v15, v15, v16
	v_add_f16_e32 v68, v76, v68
	v_fma_f16 v76, v47, 0xb461, -v122
	v_add_f16_e32 v77, v117, v78
	v_fma_f16 v78, v43, 0x39e9, -v132
	v_fmac_f16_e32 v123, 0xb461, v37
	v_fma_f16 v79, v44, 0x2de8, -v131
	v_add_f16_e32 v68, v76, v68
	v_fma_f16 v76, v48, 0x39e9, -v124
	v_add_f16_e32 v77, v118, v77
	v_add_f16_sdwa v78, v34, v78 dst_sel:DWORD dst_unused:UNUSED_PAD src0_sel:WORD_1 src1_sel:DWORD
	v_pk_add_f16 v15, v15, v19
	v_fmac_f16_e32 v125, 0x39e9, v36
	v_add_f16_e32 v68, v76, v68
	v_fma_f16 v76, v49, 0x3b76, -v119
	v_add_f16_e32 v77, v123, v77
	v_add_f16_e32 v78, v79, v78
	v_fma_f16 v79, v46, 0xb8d2, -v134
	v_fma_f16 v43, v43, 0x3b76, -v56
	v_pk_add_f16 v15, v15, v20
	v_add_f16_e32 v68, v76, v68
	v_fma_f16 v76, v51, 0x2de8, -v127
	v_add_f16_e32 v77, v125, v77
	v_fmac_f16_e32 v126, 0x3b76, v35
	v_add_f16_e32 v78, v79, v78
	v_fma_f16 v23, v47, 0xbbdd, -v23
	v_fmac_f16_e32 v121, 0x39e9, v40
	v_fmac_f16_e32 v64, 0x3b76, v40
	v_add_f16_sdwa v16, v34, v43 dst_sel:DWORD dst_unused:UNUSED_PAD src0_sel:WORD_1 src1_sel:DWORD
	v_fma_f16 v43, v44, 0x39e9, -v143
	v_pk_add_f16 v15, v15, v17
	v_add_f16_e32 v68, v76, v68
	v_add_f16_e32 v76, v126, v77
	;; [unrolled: 1-line block ×3, first 2 shown]
	v_fma_f16 v77, v48, 0xbacd, -v138
	v_add_f16_e32 v78, v34, v121
	v_fmac_f16_e32 v136, 0x2de8, v39
	v_add_f16_e32 v34, v34, v64
	v_fmac_f16_e32 v57, 0x39e9, v39
	v_add_f16_e32 v16, v43, v16
	v_fma_f16 v40, v46, 0x3722, -v144
	v_pk_add_f16 v15, v15, v18
	v_add_f16_e32 v23, v77, v23
	v_fma_f16 v77, v49, 0xb461, -v139
	v_add_f16_e32 v78, v136, v78
	v_fmac_f16_e32 v137, 0xb8d2, v38
	v_add_f16_e32 v17, v57, v34
	v_fmac_f16_e32 v61, 0x3722, v38
	v_add_f16_e32 v16, v40, v16
	v_fma_f16 v20, v47, 0x2de8, -v142
	v_pk_add_f16 v13, v15, v13
	v_add_f16_e32 v23, v77, v23
	v_fma_f16 v77, v51, 0x3722, -v140
	v_add_f16_e32 v78, v137, v78
	v_fmac_f16_e32 v135, 0xbbdd, v37
	v_add_f16_e32 v17, v61, v17
	v_fmac_f16_e32 v52, 0x2de8, v37
	v_add_f16_e32 v16, v20, v16
	v_fma_f16 v18, v48, 0xb461, -v133
	v_pk_add_f16 v13, v13, v14
	v_add_f16_e32 v23, v77, v23
	v_add_f16_e32 v77, v135, v78
	v_fmac_f16_e32 v93, 0xbacd, v36
	v_add_f16_e32 v17, v52, v17
	v_fmac_f16_e32 v59, 0xb461, v36
	v_add_f16_e32 v15, v18, v16
	v_fma_f16 v16, v49, 0xb8d2, -v112
	v_pk_add_f16 v11, v13, v11
	v_fmac_f16_e32 v88, 0xbacd, v35
	v_add_f16_e32 v19, v93, v77
	v_fmac_f16_e32 v54, 0xb461, v35
	v_add_f16_e32 v17, v59, v17
	v_fmac_f16_e32 v58, 0xb8d2, v35
	v_fmamk_f16 v90, v53, 0xbbdd, v89
	v_add_f16_e32 v15, v16, v15
	v_fma_f16 v16, v51, 0xbacd, -v95
	v_pk_add_f16 v11, v11, v12
	v_fmac_f16_e32 v81, 0x3b76, v41
	v_add_f16_e32 v67, v88, v67
	v_fmac_f16_e32 v86, 0xb8d2, v41
	v_fmac_f16_e32 v128, 0x2de8, v41
	v_add_f16_e32 v19, v54, v19
	v_fmac_f16_e32 v55, 0x3722, v41
	v_add_f16_e32 v12, v58, v17
	;; [unrolled: 2-line block ×3, first 2 shown]
	v_add_f16_e32 v13, v16, v15
	v_fma_f16 v15, v53, 0xbbdd, -v89
	v_mul_u32_u24_e32 v16, 0x44, v3
	v_pk_add_f16 v9, v11, v9
	v_add_f16_e32 v65, v81, v65
	v_fmac_f16_e32 v82, 0xb8d2, v42
	v_add_f16_e32 v67, v86, v67
	v_fmac_f16_e32 v84, 0x39e9, v42
	v_fma_f16 v79, v53, 0xbacd, -v129
	v_add_f16_e32 v76, v128, v76
	v_fmac_f16_e32 v130, 0xbacd, v42
	v_fma_f16 v56, v53, 0x3b76, -v141
	v_add_f16_e32 v14, v55, v19
	v_fmac_f16_e32 v105, 0x3b76, v42
	v_add_f16_e32 v12, v50, v12
	v_fmac_f16_e32 v45, 0xbbdd, v42
	v_add_f16_e32 v11, v15, v13
	v_add3_u32 v13, 0, v16, v27
	v_pk_add_f16 v9, v9, v10
	v_pack_b32_f16 v10, v63, v60
	v_pack_b32_f16 v15, v116, v102
	;; [unrolled: 1-line block ×3, first 2 shown]
	v_add_f16_e32 v65, v82, v65
	v_add_f16_e32 v67, v84, v67
	v_pack_b32_f16 v17, v73, v72
	v_pack_b32_f16 v18, v75, v74
	v_add_f16_e32 v68, v79, v68
	v_add_f16_e32 v76, v130, v76
	;; [unrolled: 1-line block ×4, first 2 shown]
	v_pack_b32_f16 v19, v69, v66
	v_pack_b32_f16 v20, v71, v70
	v_add_f16_e32 v12, v45, v12
	ds_write2_b32 v13, v9, v10 offset1:1
	ds_write2_b32 v13, v16, v15 offset0:2 offset1:3
	ds_write2_b32 v13, v18, v17 offset0:4 offset1:5
	;; [unrolled: 1-line block ×3, first 2 shown]
	v_alignbit_b32 v9, v33, v30, 16
	v_alignbit_b32 v10, v30, v32, 16
	v_perm_b32 v15, v31, v8, 0x5040100
	v_perm_b32 v16, v32, v7, 0x5040100
	v_pack_b32_f16 v17, v67, v21
	v_pack_b32_f16 v18, v65, v62
	;; [unrolled: 1-line block ×5, first 2 shown]
	ds_write2_b32 v13, v10, v9 offset0:8 offset1:9
	ds_write2_b32 v13, v16, v15 offset0:10 offset1:11
	;; [unrolled: 1-line block ×4, first 2 shown]
	ds_write_b32 v13, v11 offset:64
.LBB0_14:
	s_or_b32 exec_lo, exec_lo, s1
	s_waitcnt lgkmcnt(0)
	s_barrier
	buffer_gl0_inv
	ds_read2_b32 v[11:12], v26 offset0:68 offset1:187
	ds_read2_b32 v[13:14], v28 offset0:127 offset1:246
	;; [unrolled: 1-line block ×3, first 2 shown]
	ds_read_b32 v17, v25
	ds_read_b32 v18, v26 offset:2516
	v_cmp_gt_u32_e64 s0, 51, v3
	v_lshrrev_b32_e32 v10, 16, v30
	s_and_saveexec_b32 s1, s0
	s_cbranch_execz .LBB0_16
; %bb.15:
	v_add_nc_u32_e32 v7, 0x200, v26
	v_add_nc_u32_e32 v8, 0x700, v26
	ds_read2_b32 v[9:10], v7 offset0:8 offset1:195
	ds_read2_b32 v[7:8], v8 offset0:62 offset1:249
	ds_read_u16 v19, v26 offset:2042
	s_waitcnt lgkmcnt(2)
	v_lshrrev_b32_e32 v30, 16, v9
	s_waitcnt lgkmcnt(1)
	v_lshrrev_b32_e32 v31, 16, v8
	v_lshrrev_b32_e32 v33, 16, v10
	s_waitcnt lgkmcnt(0)
	v_perm_b32 v32, v9, v19, 0x5040100
.LBB0_16:
	s_or_b32 exec_lo, exec_lo, s1
	v_and_b32_e32 v9, 0xff, v3
	v_add_nc_u16 v19, v3, 0x44
	s_waitcnt lgkmcnt(4)
	v_lshrrev_b32_e32 v39, 16, v12
	s_waitcnt lgkmcnt(3)
	v_lshrrev_b32_e32 v40, 16, v14
	;; [unrolled: 2-line block ×3, first 2 shown]
	v_mul_lo_u16 v9, 0xf1, v9
	v_lshrrev_b32_e32 v42, 16, v13
	v_lshrrev_b32_e32 v43, 16, v15
	s_waitcnt lgkmcnt(0)
	v_lshrrev_b32_e32 v44, 16, v18
	v_lshrrev_b32_e32 v37, 16, v17
	v_lshrrev_b16 v23, 12, v9
	v_and_b32_e32 v9, 0xff, v19
	v_lshrrev_b32_e32 v38, 16, v11
	s_load_dwordx2 s[2:3], s[2:3], 0x0
	v_mul_lo_u16 v20, v23, 17
	v_mul_lo_u16 v21, 0xf1, v9
	v_mov_b32_e32 v9, 3
	v_and_b32_e32 v23, 0xffff, v23
	v_sub_nc_u16 v24, v3, v20
	v_lshrrev_b16 v28, 12, v21
	v_mad_u32_u24 v23, 0x110, v23, 0
	v_mul_u32_u24_sdwa v20, v24, v9 dst_sel:DWORD dst_unused:UNUSED_PAD src0_sel:BYTE_0 src1_sel:DWORD
	v_mul_lo_u16 v21, v28, 17
	v_and_b32_e32 v28, 0xffff, v28
	v_lshlrev_b32_e32 v20, 2, v20
	v_sub_nc_u16 v29, v19, v21
	v_mad_u32_u24 v28, 0x110, v28, 0
	global_load_dwordx3 v[20:22], v20, s[12:13]
	v_mul_u32_u24_sdwa v19, v29, v9 dst_sel:DWORD dst_unused:UNUSED_PAD src0_sel:BYTE_0 src1_sel:DWORD
	v_lshlrev_b32_e32 v19, 2, v19
	global_load_dwordx3 v[34:36], v19, s[12:13]
	v_mov_b32_e32 v19, 2
	s_waitcnt vmcnt(0) lgkmcnt(0)
	s_barrier
	buffer_gl0_inv
	v_lshlrev_b32_sdwa v24, v19, v24 dst_sel:DWORD dst_unused:UNUSED_PAD src0_sel:DWORD src1_sel:BYTE_0
	v_lshlrev_b32_sdwa v29, v19, v29 dst_sel:DWORD dst_unused:UNUSED_PAD src0_sel:DWORD src1_sel:BYTE_0
	v_add3_u32 v23, v23, v24, v27
	v_add3_u32 v24, v28, v29, v27
	v_mul_f16_sdwa v28, v20, v39 dst_sel:DWORD dst_unused:UNUSED_PAD src0_sel:WORD_1 src1_sel:DWORD
	v_mul_f16_sdwa v29, v20, v12 dst_sel:DWORD dst_unused:UNUSED_PAD src0_sel:WORD_1 src1_sel:DWORD
	;; [unrolled: 1-line block ×6, first 2 shown]
	v_fma_f16 v12, v20, v12, -v28
	v_fmac_f16_e32 v29, v20, v39
	v_fma_f16 v14, v21, v14, -v45
	v_fmac_f16_e32 v46, v21, v40
	;; [unrolled: 2-line block ×3, first 2 shown]
	v_mul_f16_sdwa v20, v34, v42 dst_sel:DWORD dst_unused:UNUSED_PAD src0_sel:WORD_1 src1_sel:DWORD
	v_mul_f16_sdwa v21, v34, v13 dst_sel:DWORD dst_unused:UNUSED_PAD src0_sel:WORD_1 src1_sel:DWORD
	;; [unrolled: 1-line block ×6, first 2 shown]
	v_fma_f16 v13, v34, v13, -v20
	v_fmac_f16_e32 v21, v34, v42
	v_fma_f16 v15, v35, v15, -v22
	v_fmac_f16_e32 v28, v35, v43
	v_fma_f16 v18, v36, v18, -v39
	v_fmac_f16_e32 v40, v36, v44
	v_sub_f16_e32 v14, v17, v14
	v_sub_f16_e32 v20, v37, v46
	;; [unrolled: 1-line block ×8, first 2 shown]
	v_fma_f16 v17, v17, 2.0, -v14
	v_fma_f16 v34, v37, 2.0, -v20
	v_fma_f16 v12, v12, 2.0, -v16
	v_fma_f16 v29, v29, 2.0, -v22
	v_sub_f16_e32 v22, v14, v22
	v_add_f16_e32 v16, v20, v16
	v_fma_f16 v11, v11, 2.0, -v15
	v_fma_f16 v36, v38, 2.0, -v28
	;; [unrolled: 1-line block ×4, first 2 shown]
	v_sub_f16_e32 v12, v17, v12
	v_sub_f16_e32 v29, v34, v29
	v_fma_f16 v14, v14, 2.0, -v22
	v_fma_f16 v20, v20, 2.0, -v16
	v_sub_f16_e32 v35, v15, v35
	v_add_f16_e32 v18, v28, v18
	v_sub_f16_e32 v13, v11, v13
	v_sub_f16_e32 v21, v36, v21
	v_pack_b32_f16 v16, v22, v16
	v_fma_f16 v17, v17, 2.0, -v12
	v_fma_f16 v22, v34, 2.0, -v29
	;; [unrolled: 1-line block ×4, first 2 shown]
	v_pack_b32_f16 v14, v14, v20
	v_fma_f16 v11, v11, 2.0, -v13
	v_fma_f16 v20, v36, 2.0, -v21
	v_pack_b32_f16 v12, v12, v29
	v_pack_b32_f16 v17, v17, v22
	;; [unrolled: 1-line block ×6, first 2 shown]
	ds_write2_b32 v23, v12, v16 offset0:34 offset1:51
	ds_write2_b32 v23, v17, v14 offset1:17
	ds_write2_b32 v24, v11, v15 offset1:17
	ds_write2_b32 v24, v13, v18 offset0:34 offset1:51
	s_and_saveexec_b32 s1, s0
	s_cbranch_execz .LBB0_18
; %bb.17:
	v_add_nc_u16 v11, v3, 0x88
	v_and_b32_e32 v12, 0xff, v11
	v_mul_lo_u16 v12, 0xf1, v12
	v_lshrrev_b16 v14, 12, v12
	v_mul_lo_u16 v12, v14, 17
	v_sub_nc_u16 v15, v11, v12
	v_mul_u32_u24_sdwa v9, v15, v9 dst_sel:DWORD dst_unused:UNUSED_PAD src0_sel:BYTE_0 src1_sel:DWORD
	v_lshlrev_b32_sdwa v15, v19, v15 dst_sel:DWORD dst_unused:UNUSED_PAD src0_sel:DWORD src1_sel:BYTE_0
	v_lshlrev_b32_e32 v9, 2, v9
	global_load_dwordx3 v[11:13], v9, s[12:13]
	v_lshrrev_b32_e32 v9, 16, v32
	s_waitcnt vmcnt(0)
	v_mul_f16_sdwa v16, v32, v12 dst_sel:DWORD dst_unused:UNUSED_PAD src0_sel:DWORD src1_sel:WORD_1
	v_mul_f16_sdwa v17, v10, v11 dst_sel:DWORD dst_unused:UNUSED_PAD src0_sel:DWORD src1_sel:WORD_1
	;; [unrolled: 1-line block ×6, first 2 shown]
	v_fma_f16 v7, v7, v12, -v16
	v_fmac_f16_e32 v17, v33, v11
	v_fma_f16 v10, v10, v11, -v20
	v_fma_f16 v8, v8, v13, -v21
	v_fmac_f16_e32 v22, v32, v12
	v_fmac_f16_e32 v18, v31, v13
	v_sub_f16_e32 v7, v9, v7
	v_and_b32_e32 v13, 0xffff, v14
	v_sub_f16_e32 v8, v10, v8
	v_sub_f16_e32 v11, v30, v22
	;; [unrolled: 1-line block ×3, first 2 shown]
	v_fma_f16 v9, v9, 2.0, -v7
	v_mad_u32_u24 v13, 0x110, v13, 0
	v_fma_f16 v10, v10, 2.0, -v8
	v_fma_f16 v14, v30, 2.0, -v11
	v_fma_f16 v16, v17, 2.0, -v12
	v_sub_f16_e32 v12, v7, v12
	v_add_f16_e32 v8, v11, v8
	v_sub_f16_e32 v10, v9, v10
	v_add3_u32 v13, v13, v15, v27
	v_sub_f16_e32 v16, v14, v16
	v_fma_f16 v7, v7, 2.0, -v12
	v_fma_f16 v11, v11, 2.0, -v8
	;; [unrolled: 1-line block ×3, first 2 shown]
	v_pack_b32_f16 v8, v12, v8
	v_fma_f16 v14, v14, 2.0, -v16
	v_pack_b32_f16 v10, v10, v16
	v_pack_b32_f16 v7, v7, v11
	;; [unrolled: 1-line block ×3, first 2 shown]
	ds_write2_b32 v13, v9, v7 offset1:17
	ds_write2_b32 v13, v10, v8 offset0:34 offset1:51
.LBB0_18:
	s_or_b32 exec_lo, exec_lo, s1
	v_mul_u32_u24_e32 v7, 10, v3
	s_waitcnt lgkmcnt(0)
	s_barrier
	buffer_gl0_inv
	v_add_nc_u32_e32 v9, 0x600, v26
	v_lshlrev_b32_e32 v7, 2, v7
	v_add_nc_u32_e32 v8, 0x800, v26
	v_add_nc_u32_e32 v24, 0x200, v26
	s_add_u32 s1, s12, 0xb6c
	s_addc_u32 s4, s13, 0
	s_clause 0x2
	global_load_dwordx4 v[10:13], v7, s[12:13] offset:204
	global_load_dwordx4 v[14:17], v7, s[12:13] offset:220
	global_load_dwordx2 v[18:19], v7, s[12:13] offset:236
	ds_read2_b32 v[20:21], v26 offset0:68 offset1:136
	v_add_nc_u32_e32 v7, 0x400, v26
	s_mov_b32 s5, exec_lo
	ds_read2_b32 v[22:23], v7 offset0:84 offset1:152
	ds_read2_b32 v[27:28], v9 offset0:92 offset1:160
	;; [unrolled: 1-line block ×4, first 2 shown]
	ds_read_b32 v9, v25
	ds_read_u16 v24, v26 offset:1362
	s_waitcnt vmcnt(0) lgkmcnt(0)
	s_barrier
	buffer_gl0_inv
	v_lshrrev_b32_e32 v33, 16, v20
	v_lshrrev_b32_e32 v34, 16, v21
	;; [unrolled: 1-line block ×9, first 2 shown]
	v_mul_f16_sdwa v42, v10, v33 dst_sel:DWORD dst_unused:UNUSED_PAD src0_sel:WORD_1 src1_sel:DWORD
	v_mul_f16_sdwa v43, v10, v20 dst_sel:DWORD dst_unused:UNUSED_PAD src0_sel:WORD_1 src1_sel:DWORD
	;; [unrolled: 1-line block ×8, first 2 shown]
	v_mul_f16_sdwa v50, v24, v14 dst_sel:DWORD dst_unused:UNUSED_PAD src0_sel:DWORD src1_sel:WORD_1
	v_mul_f16_sdwa v51, v14, v22 dst_sel:DWORD dst_unused:UNUSED_PAD src0_sel:WORD_1 src1_sel:DWORD
	v_mul_f16_sdwa v52, v35, v15 dst_sel:DWORD dst_unused:UNUSED_PAD src0_sel:DWORD src1_sel:WORD_1
	v_mul_f16_sdwa v53, v23, v15 dst_sel:DWORD dst_unused:UNUSED_PAD src0_sel:DWORD src1_sel:WORD_1
	;; [unrolled: 1-line block ×10, first 2 shown]
	v_fma_f16 v20, v10, v20, -v42
	v_fmac_f16_e32 v43, v10, v33
	v_fma_f16 v10, v11, v21, -v44
	v_fmac_f16_e32 v45, v11, v34
	;; [unrolled: 2-line block ×8, first 2 shown]
	v_fma_f16 v17, v29, v18, -v58
	v_fma_f16 v21, v30, v19, -v60
	v_fmac_f16_e32 v61, v39, v19
	v_fmac_f16_e32 v59, v38, v18
	v_add_f16_e32 v18, v20, v9
	v_add_f16_sdwa v19, v43, v9 dst_sel:DWORD dst_unused:UNUSED_PAD src0_sel:DWORD src1_sel:WORD_1
	v_add_f16_e32 v27, v10, v17
	v_sub_f16_e32 v29, v10, v17
	v_add_f16_e32 v22, v20, v21
	v_add_f16_e32 v10, v18, v10
	;; [unrolled: 1-line block ×3, first 2 shown]
	v_sub_f16_e32 v20, v20, v21
	v_sub_f16_e32 v24, v43, v61
	v_add_f16_e32 v31, v11, v16
	v_sub_f16_e32 v33, v11, v16
	v_add_f16_e32 v10, v10, v11
	v_add_f16_e32 v11, v18, v47
	v_add_f16_e32 v23, v43, v61
	v_add_f16_e32 v28, v45, v59
	v_sub_f16_e32 v30, v45, v59
	v_sub_f16_e32 v34, v47, v57
	;; [unrolled: 1-line block ×6, first 2 shown]
	v_mul_f16_e32 v19, 0xb853, v24
	v_mul_f16_e32 v43, 0xb853, v20
	;; [unrolled: 1-line block ×10, first 2 shown]
	v_add_f16_e32 v10, v10, v12
	v_add_f16_e32 v11, v11, v49
	;; [unrolled: 1-line block ×7, first 2 shown]
	v_mul_f16_e32 v54, 0xbb47, v30
	v_mul_f16_e32 v56, 0xbb47, v29
	;; [unrolled: 1-line block ×40, first 2 shown]
	v_fma_f16 v18, v22, 0x3abb, -v19
	v_fmamk_f16 v47, v23, 0x3abb, v43
	v_fmac_f16_e32 v19, 0x3abb, v22
	v_fma_f16 v43, v23, 0x3abb, -v43
	v_fma_f16 v90, v22, 0x36a6, -v44
	v_fmamk_f16 v91, v23, 0x36a6, v45
	v_fmac_f16_e32 v44, 0x36a6, v22
	v_fma_f16 v45, v23, 0x36a6, -v45
	;; [unrolled: 4-line block ×5, first 2 shown]
	v_add_f16_e32 v10, v10, v13
	v_add_f16_e32 v11, v11, v51
	v_fma_f16 v22, v27, 0x36a6, -v54
	v_fmamk_f16 v23, v28, 0x36a6, v56
	v_fmac_f16_e32 v54, 0x36a6, v27
	v_fma_f16 v56, v28, 0x36a6, -v56
	v_fma_f16 v98, v27, 0xb93d, -v58
	v_fmamk_f16 v99, v28, 0xb93d, v60
	v_fmac_f16_e32 v58, 0xb93d, v27
	v_fma_f16 v60, v28, 0xb93d, -v60
	;; [unrolled: 4-line block ×20, first 2 shown]
	v_add_f16_e32 v12, v18, v9
	v_add_f16_sdwa v18, v47, v9 dst_sel:DWORD dst_unused:UNUSED_PAD src0_sel:DWORD src1_sel:WORD_1
	v_add_f16_e32 v19, v19, v9
	v_add_f16_sdwa v40, v43, v9 dst_sel:DWORD dst_unused:UNUSED_PAD src0_sel:DWORD src1_sel:WORD_1
	;; [unrolled: 2-line block ×10, first 2 shown]
	v_add_f16_e32 v10, v10, v14
	v_add_f16_e32 v11, v11, v53
	;; [unrolled: 1-line block ×90, first 2 shown]
	v_pack_b32_f16 v12, v12, v13
	v_pack_b32_f16 v13, v16, v18
	;; [unrolled: 1-line block ×11, first 2 shown]
	ds_write2_b32 v26, v13, v16 offset0:136 offset1:204
	ds_write2_b32 v7, v17, v18 offset0:16 offset1:84
	;; [unrolled: 1-line block ×4, first 2 shown]
	ds_write_b32 v26, v14 offset:2720
	ds_write2_b32 v26, v10, v12 offset1:68
	s_waitcnt lgkmcnt(0)
	s_barrier
	buffer_gl0_inv
	ds_read_b32 v13, v25
	v_sub_nc_u32_e32 v9, v0, v4
                                        ; implicit-def: $vgpr12
                                        ; implicit-def: $vgpr10
                                        ; implicit-def: $vgpr11
                                        ; implicit-def: $vgpr7_vgpr8
	v_cmpx_ne_u32_e32 0, v3
	s_xor_b32 s5, exec_lo, s5
	s_cbranch_execz .LBB0_20
; %bb.19:
	v_mov_b32_e32 v4, 0
	v_lshlrev_b64 v[7:8], 2, v[3:4]
	v_add_co_u32 v7, s0, s1, v7
	v_add_co_ci_u32_e64 v8, s0, s4, v8, s0
	global_load_dword v7, v[7:8], off
	ds_read_b32 v8, v9 offset:2992
	s_waitcnt lgkmcnt(0)
	v_sub_f16_e32 v10, v13, v8
	v_add_f16_sdwa v11, v8, v13 dst_sel:DWORD dst_unused:UNUSED_PAD src0_sel:WORD_1 src1_sel:WORD_1
	v_sub_f16_sdwa v12, v13, v8 dst_sel:DWORD dst_unused:UNUSED_PAD src0_sel:WORD_1 src1_sel:WORD_1
	v_add_f16_e32 v8, v8, v13
	v_mul_f16_e32 v14, 0.5, v10
	v_mul_f16_e32 v13, 0.5, v11
	;; [unrolled: 1-line block ×3, first 2 shown]
	s_waitcnt vmcnt(0)
	v_lshrrev_b32_e32 v10, 16, v7
	v_mul_f16_e32 v12, v10, v14
	v_fma_f16 v15, v13, v10, v11
	v_fma_f16 v16, 0.5, v8, v12
	v_fma_f16 v8, v8, 0.5, -v12
	v_fma_f16 v12, v13, v10, -v11
	v_fma_f16 v11, -v7, v14, v15
	v_fmac_f16_e32 v16, v7, v13
	v_fma_f16 v10, -v7, v13, v8
	v_fma_f16 v12, -v7, v14, v12
	v_mov_b32_e32 v8, v4
	v_mov_b32_e32 v7, v3
	ds_write_b16 v25, v16
                                        ; implicit-def: $vgpr13
.LBB0_20:
	s_andn2_saveexec_b32 s0, s5
	s_cbranch_execz .LBB0_22
; %bb.21:
	ds_read_u16 v4, v0 offset:1498
	v_mov_b32_e32 v7, 0
	s_waitcnt lgkmcnt(1)
	v_add_f16_sdwa v14, v13, v13 dst_sel:DWORD dst_unused:UNUSED_PAD src0_sel:WORD_1 src1_sel:DWORD
	v_sub_f16_sdwa v10, v13, v13 dst_sel:DWORD dst_unused:UNUSED_PAD src0_sel:DWORD src1_sel:WORD_1
	v_mov_b32_e32 v8, 0
	v_mov_b32_e32 v11, 0
	;; [unrolled: 1-line block ×3, first 2 shown]
	s_waitcnt lgkmcnt(0)
	v_xor_b32_e32 v4, 0x8000, v4
	ds_write_b16 v25, v14
	ds_write_b16 v0, v4 offset:1498
.LBB0_22:
	s_or_b32 exec_lo, exec_lo, s0
	v_lshlrev_b64 v[7:8], 2, v[7:8]
	v_perm_b32 v10, v12, v10, 0x5040100
	v_add_co_u32 v7, s0, s1, v7
	v_add_co_ci_u32_e64 v8, s0, s4, v8, s0
	s_mov_b32 s1, exec_lo
	global_load_dword v4, v[7:8], off offset:272
	s_waitcnt lgkmcnt(0)
	s_clause 0x2
	global_load_dword v13, v[7:8], off offset:544
	global_load_dword v14, v[7:8], off offset:816
	;; [unrolled: 1-line block ×3, first 2 shown]
	ds_write_b16 v25, v11 offset:2
	ds_write_b32 v9, v10 offset:2992
	ds_read_b32 v10, v25 offset:272
	ds_read_b32 v11, v9 offset:2720
	s_waitcnt lgkmcnt(0)
	v_pk_add_f16 v12, v10, v11 neg_lo:[0,1] neg_hi:[0,1]
	v_pk_add_f16 v10, v10, v11
	v_bfi_b32 v11, 0xffff, v12, v10
	v_bfi_b32 v10, 0xffff, v10, v12
	v_pk_mul_f16 v11, v11, 0.5 op_sel_hi:[1,0]
	v_pk_mul_f16 v10, v10, 0.5 op_sel_hi:[1,0]
	s_waitcnt vmcnt(3)
	v_pk_fma_f16 v12, v4, v11, v10 op_sel:[1,0,0]
	v_pk_mul_f16 v16, v4, v11 op_sel_hi:[0,1]
	v_pk_fma_f16 v17, v4, v11, v10 op_sel:[1,0,0] neg_lo:[1,0,0] neg_hi:[1,0,0]
	v_pk_fma_f16 v4, v4, v11, v10 op_sel:[1,0,0] neg_lo:[0,0,1] neg_hi:[0,0,1]
	v_pk_add_f16 v10, v12, v16 op_sel:[0,1] op_sel_hi:[1,0]
	v_pk_add_f16 v11, v12, v16 op_sel:[0,1] op_sel_hi:[1,0] neg_lo:[0,1] neg_hi:[0,1]
	v_pk_add_f16 v12, v17, v16 op_sel:[0,1] op_sel_hi:[1,0] neg_lo:[0,1] neg_hi:[0,1]
	v_pk_add_f16 v4, v4, v16 op_sel:[0,1] op_sel_hi:[1,0] neg_lo:[0,1] neg_hi:[0,1]
	v_bfi_b32 v10, 0xffff, v10, v11
	v_bfi_b32 v4, 0xffff, v12, v4
	ds_write_b32 v25, v10 offset:272
	ds_write_b32 v9, v4 offset:2720
	ds_read_b32 v4, v25 offset:544
	ds_read_b32 v10, v9 offset:2448
	s_waitcnt lgkmcnt(0)
	v_pk_add_f16 v11, v4, v10 neg_lo:[0,1] neg_hi:[0,1]
	v_pk_add_f16 v4, v4, v10
	v_bfi_b32 v10, 0xffff, v11, v4
	v_bfi_b32 v4, 0xffff, v4, v11
	v_pk_mul_f16 v10, v10, 0.5 op_sel_hi:[1,0]
	v_pk_mul_f16 v4, v4, 0.5 op_sel_hi:[1,0]
	s_waitcnt vmcnt(2)
	v_pk_mul_f16 v12, v13, v10 op_sel_hi:[0,1]
	v_pk_fma_f16 v11, v13, v10, v4 op_sel:[1,0,0]
	v_pk_fma_f16 v16, v13, v10, v4 op_sel:[1,0,0] neg_lo:[1,0,0] neg_hi:[1,0,0]
	v_pk_fma_f16 v4, v13, v10, v4 op_sel:[1,0,0] neg_lo:[0,0,1] neg_hi:[0,0,1]
	v_pk_add_f16 v10, v11, v12 op_sel:[0,1] op_sel_hi:[1,0]
	v_pk_add_f16 v11, v11, v12 op_sel:[0,1] op_sel_hi:[1,0] neg_lo:[0,1] neg_hi:[0,1]
	v_pk_add_f16 v13, v16, v12 op_sel:[0,1] op_sel_hi:[1,0] neg_lo:[0,1] neg_hi:[0,1]
	v_pk_add_f16 v4, v4, v12 op_sel:[0,1] op_sel_hi:[1,0] neg_lo:[0,1] neg_hi:[0,1]
	v_bfi_b32 v10, 0xffff, v10, v11
	v_bfi_b32 v4, 0xffff, v13, v4
	ds_write_b32 v25, v10 offset:544
	ds_write_b32 v9, v4 offset:2448
	ds_read_b32 v4, v25 offset:816
	ds_read_b32 v10, v9 offset:2176
	s_waitcnt lgkmcnt(0)
	v_pk_add_f16 v11, v4, v10 neg_lo:[0,1] neg_hi:[0,1]
	v_pk_add_f16 v4, v4, v10
	v_bfi_b32 v10, 0xffff, v11, v4
	v_bfi_b32 v4, 0xffff, v4, v11
	v_pk_mul_f16 v10, v10, 0.5 op_sel_hi:[1,0]
	v_pk_mul_f16 v4, v4, 0.5 op_sel_hi:[1,0]
	s_waitcnt vmcnt(1)
	v_pk_mul_f16 v12, v14, v10 op_sel_hi:[0,1]
	v_pk_fma_f16 v11, v14, v10, v4 op_sel:[1,0,0]
	;; [unrolled: 22-line block ×3, first 2 shown]
	v_pk_fma_f16 v13, v15, v10, v4 op_sel:[1,0,0] neg_lo:[1,0,0] neg_hi:[1,0,0]
	v_pk_fma_f16 v4, v15, v10, v4 op_sel:[1,0,0] neg_lo:[0,0,1] neg_hi:[0,0,1]
	v_pk_add_f16 v10, v11, v12 op_sel:[0,1] op_sel_hi:[1,0]
	v_pk_add_f16 v11, v11, v12 op_sel:[0,1] op_sel_hi:[1,0] neg_lo:[0,1] neg_hi:[0,1]
	v_pk_add_f16 v13, v13, v12 op_sel:[0,1] op_sel_hi:[1,0] neg_lo:[0,1] neg_hi:[0,1]
	;; [unrolled: 1-line block ×3, first 2 shown]
	v_bfi_b32 v10, 0xffff, v10, v11
	v_bfi_b32 v4, 0xffff, v13, v4
	ds_write_b32 v25, v10 offset:1088
	ds_write_b32 v9, v4 offset:1904
	v_cmpx_gt_u32_e32 34, v3
	s_cbranch_execz .LBB0_24
; %bb.23:
	global_load_dword v4, v[7:8], off offset:1360
	ds_read_b32 v7, v25 offset:1360
	ds_read_b32 v8, v9 offset:1632
	s_waitcnt lgkmcnt(0)
	v_pk_add_f16 v10, v7, v8 neg_lo:[0,1] neg_hi:[0,1]
	v_pk_add_f16 v7, v7, v8
	v_bfi_b32 v8, 0xffff, v10, v7
	v_bfi_b32 v7, 0xffff, v7, v10
	v_pk_mul_f16 v8, v8, 0.5 op_sel_hi:[1,0]
	v_pk_mul_f16 v7, v7, 0.5 op_sel_hi:[1,0]
	s_waitcnt vmcnt(0)
	v_pk_fma_f16 v10, v4, v8, v7 op_sel:[1,0,0]
	v_pk_mul_f16 v11, v4, v8 op_sel_hi:[0,1]
	v_pk_fma_f16 v12, v4, v8, v7 op_sel:[1,0,0] neg_lo:[1,0,0] neg_hi:[1,0,0]
	v_pk_fma_f16 v4, v4, v8, v7 op_sel:[1,0,0] neg_lo:[0,0,1] neg_hi:[0,0,1]
	v_pk_add_f16 v7, v10, v11 op_sel:[0,1] op_sel_hi:[1,0]
	v_pk_add_f16 v8, v10, v11 op_sel:[0,1] op_sel_hi:[1,0] neg_lo:[0,1] neg_hi:[0,1]
	v_pk_add_f16 v10, v12, v11 op_sel:[0,1] op_sel_hi:[1,0] neg_lo:[0,1] neg_hi:[0,1]
	;; [unrolled: 1-line block ×3, first 2 shown]
	v_bfi_b32 v7, 0xffff, v7, v8
	v_bfi_b32 v4, 0xffff, v10, v4
	ds_write_b32 v25, v7 offset:1360
	ds_write_b32 v9, v4 offset:1632
.LBB0_24:
	s_or_b32 exec_lo, exec_lo, s1
	s_waitcnt lgkmcnt(0)
	s_barrier
	buffer_gl0_inv
	s_and_saveexec_b32 s0, vcc_lo
	s_cbranch_execz .LBB0_27
; %bb.25:
	v_mul_lo_u32 v7, s3, v5
	v_mul_lo_u32 v8, s2, v6
	v_mad_u64_u32 v[5:6], null, s2, v5, 0
	v_lshl_add_u32 v0, v3, 2, v0
	v_mov_b32_e32 v4, 0
	v_lshlrev_b64 v[1:2], 2, v[1:2]
	v_add_nc_u32_e32 v9, 0x88, v3
	v_add_nc_u32_e32 v19, 0x1dc, v3
	ds_read2_b32 v[11:12], v0 offset1:68
	v_add3_u32 v6, v6, v8, v7
	v_add_nc_u32_e32 v7, 0x44, v3
	v_mov_b32_e32 v8, v4
	ds_read2_b32 v[15:16], v0 offset0:136 offset1:204
	v_lshlrev_b64 v[13:14], 2, v[3:4]
	v_lshlrev_b64 v[5:6], 2, v[5:6]
	v_mov_b32_e32 v10, v4
	v_mov_b32_e32 v20, v4
	v_add_co_u32 v17, vcc_lo, s10, v5
	v_add_co_ci_u32_e32 v18, vcc_lo, s11, v6, vcc_lo
	v_lshlrev_b64 v[5:6], 2, v[7:8]
	v_add_co_u32 v1, vcc_lo, v17, v1
	v_add_co_ci_u32_e32 v2, vcc_lo, v18, v2, vcc_lo
	v_lshlrev_b64 v[7:8], 2, v[9:10]
	v_add_co_u32 v9, vcc_lo, v1, v13
	v_add_co_ci_u32_e32 v10, vcc_lo, v2, v14, vcc_lo
	v_add_co_u32 v5, vcc_lo, v1, v5
	v_add_co_ci_u32_e32 v6, vcc_lo, v2, v6, vcc_lo
	v_add_co_u32 v7, vcc_lo, v1, v7
	v_add_nc_u32_e32 v13, 0xcc, v3
	v_mov_b32_e32 v14, v4
	v_add_co_ci_u32_e32 v8, vcc_lo, v2, v8, vcc_lo
	s_waitcnt lgkmcnt(1)
	global_store_dword v[9:10], v11, off
	global_store_dword v[5:6], v12, off
	s_waitcnt lgkmcnt(0)
	global_store_dword v[7:8], v15, off
	v_lshlrev_b64 v[5:6], 2, v[13:14]
	v_add_nc_u32_e32 v14, 0x400, v0
	v_add_nc_u32_e32 v7, 0x110, v3
	v_mov_b32_e32 v8, v4
	v_add_nc_u32_e32 v9, 0x154, v3
	v_mov_b32_e32 v10, v4
	ds_read2_b32 v[11:12], v14 offset0:16 offset1:84
	ds_read2_b32 v[17:18], v14 offset0:152 offset1:220
	v_lshlrev_b64 v[7:8], 2, v[7:8]
	v_add_nc_u32_e32 v13, 0x198, v3
	v_mov_b32_e32 v14, v4
	v_add_co_u32 v5, vcc_lo, v1, v5
	v_lshlrev_b64 v[9:10], 2, v[9:10]
	v_add_co_ci_u32_e32 v6, vcc_lo, v2, v6, vcc_lo
	v_add_co_u32 v7, vcc_lo, v1, v7
	v_lshlrev_b64 v[13:14], 2, v[13:14]
	v_add_co_ci_u32_e32 v8, vcc_lo, v2, v8, vcc_lo
	v_add_co_u32 v9, vcc_lo, v1, v9
	v_add_co_ci_u32_e32 v10, vcc_lo, v2, v10, vcc_lo
	v_add_co_u32 v13, vcc_lo, v1, v13
	v_add_co_ci_u32_e32 v14, vcc_lo, v2, v14, vcc_lo
	global_store_dword v[5:6], v16, off
	s_waitcnt lgkmcnt(1)
	global_store_dword v[7:8], v11, off
	global_store_dword v[9:10], v12, off
	s_waitcnt lgkmcnt(0)
	global_store_dword v[13:14], v17, off
	v_add_nc_u32_e32 v7, 0x220, v3
	v_mov_b32_e32 v8, v4
	v_add_nc_u32_e32 v11, 0x800, v0
	v_lshlrev_b64 v[5:6], 2, v[19:20]
	v_add_nc_u32_e32 v9, 0x264, v3
	v_mov_b32_e32 v10, v4
	v_lshlrev_b64 v[7:8], 2, v[7:8]
	ds_read2_b32 v[11:12], v11 offset0:32 offset1:100
	v_add_nc_u32_e32 v13, 0x2a8, v3
	v_mov_b32_e32 v14, v4
	v_add_co_u32 v5, vcc_lo, v1, v5
	v_lshlrev_b64 v[9:10], 2, v[9:10]
	ds_read_b32 v15, v0 offset:2720
	v_add_co_ci_u32_e32 v6, vcc_lo, v2, v6, vcc_lo
	v_add_co_u32 v7, vcc_lo, v1, v7
	v_lshlrev_b64 v[13:14], 2, v[13:14]
	v_add_co_ci_u32_e32 v8, vcc_lo, v2, v8, vcc_lo
	v_add_co_u32 v9, vcc_lo, v1, v9
	v_add_co_ci_u32_e32 v10, vcc_lo, v2, v10, vcc_lo
	v_add_co_u32 v13, vcc_lo, v1, v13
	v_add_co_ci_u32_e32 v14, vcc_lo, v2, v14, vcc_lo
	v_cmp_eq_u32_e32 vcc_lo, 0x43, v3
	global_store_dword v[5:6], v18, off
	s_waitcnt lgkmcnt(1)
	global_store_dword v[7:8], v11, off
	global_store_dword v[9:10], v12, off
	s_waitcnt lgkmcnt(0)
	global_store_dword v[13:14], v15, off
	s_and_b32 exec_lo, exec_lo, vcc_lo
	s_cbranch_execz .LBB0_27
; %bb.26:
	ds_read_b32 v3, v0 offset:2724
	v_add_co_u32 v0, vcc_lo, 0x800, v1
	v_add_co_ci_u32_e32 v1, vcc_lo, 0, v2, vcc_lo
	s_waitcnt lgkmcnt(0)
	global_store_dword v[0:1], v3, off offset:944
.LBB0_27:
	s_endpgm
	.section	.rodata,"a",@progbits
	.p2align	6, 0x0
	.amdhsa_kernel fft_rtc_fwd_len748_factors_17_4_11_wgs_204_tpt_68_halfLds_half_op_CI_CI_unitstride_sbrr_R2C_dirReg
		.amdhsa_group_segment_fixed_size 0
		.amdhsa_private_segment_fixed_size 0
		.amdhsa_kernarg_size 104
		.amdhsa_user_sgpr_count 6
		.amdhsa_user_sgpr_private_segment_buffer 1
		.amdhsa_user_sgpr_dispatch_ptr 0
		.amdhsa_user_sgpr_queue_ptr 0
		.amdhsa_user_sgpr_kernarg_segment_ptr 1
		.amdhsa_user_sgpr_dispatch_id 0
		.amdhsa_user_sgpr_flat_scratch_init 0
		.amdhsa_user_sgpr_private_segment_size 0
		.amdhsa_wavefront_size32 1
		.amdhsa_uses_dynamic_stack 0
		.amdhsa_system_sgpr_private_segment_wavefront_offset 0
		.amdhsa_system_sgpr_workgroup_id_x 1
		.amdhsa_system_sgpr_workgroup_id_y 0
		.amdhsa_system_sgpr_workgroup_id_z 0
		.amdhsa_system_sgpr_workgroup_info 0
		.amdhsa_system_vgpr_workitem_id 0
		.amdhsa_next_free_vgpr 147
		.amdhsa_next_free_sgpr 27
		.amdhsa_reserve_vcc 1
		.amdhsa_reserve_flat_scratch 0
		.amdhsa_float_round_mode_32 0
		.amdhsa_float_round_mode_16_64 0
		.amdhsa_float_denorm_mode_32 3
		.amdhsa_float_denorm_mode_16_64 3
		.amdhsa_dx10_clamp 1
		.amdhsa_ieee_mode 1
		.amdhsa_fp16_overflow 0
		.amdhsa_workgroup_processor_mode 1
		.amdhsa_memory_ordered 1
		.amdhsa_forward_progress 0
		.amdhsa_shared_vgpr_count 0
		.amdhsa_exception_fp_ieee_invalid_op 0
		.amdhsa_exception_fp_denorm_src 0
		.amdhsa_exception_fp_ieee_div_zero 0
		.amdhsa_exception_fp_ieee_overflow 0
		.amdhsa_exception_fp_ieee_underflow 0
		.amdhsa_exception_fp_ieee_inexact 0
		.amdhsa_exception_int_div_zero 0
	.end_amdhsa_kernel
	.text
.Lfunc_end0:
	.size	fft_rtc_fwd_len748_factors_17_4_11_wgs_204_tpt_68_halfLds_half_op_CI_CI_unitstride_sbrr_R2C_dirReg, .Lfunc_end0-fft_rtc_fwd_len748_factors_17_4_11_wgs_204_tpt_68_halfLds_half_op_CI_CI_unitstride_sbrr_R2C_dirReg
                                        ; -- End function
	.section	.AMDGPU.csdata,"",@progbits
; Kernel info:
; codeLenInByte = 13148
; NumSgprs: 29
; NumVgprs: 147
; ScratchSize: 0
; MemoryBound: 0
; FloatMode: 240
; IeeeMode: 1
; LDSByteSize: 0 bytes/workgroup (compile time only)
; SGPRBlocks: 3
; VGPRBlocks: 18
; NumSGPRsForWavesPerEU: 29
; NumVGPRsForWavesPerEU: 147
; Occupancy: 6
; WaveLimiterHint : 1
; COMPUTE_PGM_RSRC2:SCRATCH_EN: 0
; COMPUTE_PGM_RSRC2:USER_SGPR: 6
; COMPUTE_PGM_RSRC2:TRAP_HANDLER: 0
; COMPUTE_PGM_RSRC2:TGID_X_EN: 1
; COMPUTE_PGM_RSRC2:TGID_Y_EN: 0
; COMPUTE_PGM_RSRC2:TGID_Z_EN: 0
; COMPUTE_PGM_RSRC2:TIDIG_COMP_CNT: 0
	.text
	.p2alignl 6, 3214868480
	.fill 48, 4, 3214868480
	.type	__hip_cuid_849bdc83d539e9e,@object ; @__hip_cuid_849bdc83d539e9e
	.section	.bss,"aw",@nobits
	.globl	__hip_cuid_849bdc83d539e9e
__hip_cuid_849bdc83d539e9e:
	.byte	0                               ; 0x0
	.size	__hip_cuid_849bdc83d539e9e, 1

	.ident	"AMD clang version 19.0.0git (https://github.com/RadeonOpenCompute/llvm-project roc-6.4.0 25133 c7fe45cf4b819c5991fe208aaa96edf142730f1d)"
	.section	".note.GNU-stack","",@progbits
	.addrsig
	.addrsig_sym __hip_cuid_849bdc83d539e9e
	.amdgpu_metadata
---
amdhsa.kernels:
  - .args:
      - .actual_access:  read_only
        .address_space:  global
        .offset:         0
        .size:           8
        .value_kind:     global_buffer
      - .offset:         8
        .size:           8
        .value_kind:     by_value
      - .actual_access:  read_only
        .address_space:  global
        .offset:         16
        .size:           8
        .value_kind:     global_buffer
      - .actual_access:  read_only
        .address_space:  global
        .offset:         24
        .size:           8
        .value_kind:     global_buffer
      - .actual_access:  read_only
        .address_space:  global
        .offset:         32
        .size:           8
        .value_kind:     global_buffer
      - .offset:         40
        .size:           8
        .value_kind:     by_value
      - .actual_access:  read_only
        .address_space:  global
        .offset:         48
        .size:           8
        .value_kind:     global_buffer
      - .actual_access:  read_only
        .address_space:  global
        .offset:         56
        .size:           8
        .value_kind:     global_buffer
      - .offset:         64
        .size:           4
        .value_kind:     by_value
      - .actual_access:  read_only
        .address_space:  global
        .offset:         72
        .size:           8
        .value_kind:     global_buffer
      - .actual_access:  read_only
        .address_space:  global
        .offset:         80
        .size:           8
        .value_kind:     global_buffer
      - .actual_access:  read_only
        .address_space:  global
        .offset:         88
        .size:           8
        .value_kind:     global_buffer
      - .actual_access:  write_only
        .address_space:  global
        .offset:         96
        .size:           8
        .value_kind:     global_buffer
    .group_segment_fixed_size: 0
    .kernarg_segment_align: 8
    .kernarg_segment_size: 104
    .language:       OpenCL C
    .language_version:
      - 2
      - 0
    .max_flat_workgroup_size: 204
    .name:           fft_rtc_fwd_len748_factors_17_4_11_wgs_204_tpt_68_halfLds_half_op_CI_CI_unitstride_sbrr_R2C_dirReg
    .private_segment_fixed_size: 0
    .sgpr_count:     29
    .sgpr_spill_count: 0
    .symbol:         fft_rtc_fwd_len748_factors_17_4_11_wgs_204_tpt_68_halfLds_half_op_CI_CI_unitstride_sbrr_R2C_dirReg.kd
    .uniform_work_group_size: 1
    .uses_dynamic_stack: false
    .vgpr_count:     147
    .vgpr_spill_count: 0
    .wavefront_size: 32
    .workgroup_processor_mode: 1
amdhsa.target:   amdgcn-amd-amdhsa--gfx1030
amdhsa.version:
  - 1
  - 2
...

	.end_amdgpu_metadata
